;; amdgpu-corpus repo=ROCm/aiter kind=harvested arch=n/a opt=n/a

/root/src/amdgpu-assembly/repos/ROCm__aiter/hsa/gfx950/f4gemm/f4gemm_bf16_per1x32Fp4_BpreShuffle_64x640.co:	file format elf64-amdgpu

Disassembly of section .text:

0000000000002c00 <_ZN5aiter41f4gemm_bf16_per1x32Fp4_BpreShuffle_64x640E>:
	s_and_b32 s1, s1, 0xffff                                   // 000000002C00: 8601FF01 0000FFFF
	s_load_dwordx2 s[4:5], s[0:1], 0x0                         // 000000002C08: C0060100 00000000
	s_load_dwordx2 s[8:9], s[0:1], 0x10                        // 000000002C10: C0060200 00000010
	s_load_dwordx2 s[12:13], s[0:1], 0x20                      // 000000002C18: C0060300 00000020
	s_load_dwordx2 s[16:17], s[0:1], 0x30                      // 000000002C20: C0060400 00000030
	s_load_dword s41, s[0:1], 0x40                             // 000000002C28: C0020A40 00000040
	s_load_dword s42, s[0:1], 0x50                             // 000000002C30: C0020A80 00000050
	s_load_dword s36, s[0:1], 0x80                             // 000000002C38: C0020900 00000080
	s_load_dword s37, s[0:1], 0xa0                             // 000000002C40: C0020940 000000A0
	s_load_dword s38, s[0:1], 0xc0                             // 000000002C48: C0020980 000000C0
	s_load_dword s43, s[0:1], 0xe0                             // 000000002C50: C0020AC0 000000E0
	s_load_dword s44, s[0:1], 0xf0                             // 000000002C58: C0020B00 000000F0
	s_load_dword s45, s[0:1], 0x100                            // 000000002C60: C0020B40 00000100
	s_load_dwordx2 s[20:21], s[0:1], 0x110                     // 000000002C68: C0060500 00000110
	s_load_dwordx2 s[24:25], s[0:1], 0x120                     // 000000002C70: C0060600 00000120
	s_load_dword s39, s[0:1], 0x130                            // 000000002C78: C00209C0 00000130
	s_load_dword s40, s[0:1], 0x150                            // 000000002C80: C0020A00 00000150
	v_lshrrev_b32_e32 v1, 10, v0                               // 000000002C88: 2002008A
	v_lshrrev_b32_e32 v2, 10, v1                               // 000000002C8C: 2004028A
	v_and_b32_e32 v2, 0x3ff, v2                                // 000000002C90: 260404FF 000003FF
	v_and_b32_e32 v1, 0x3ff, v1                                // 000000002C98: 260202FF 000003FF
	v_and_b32_e32 v0, 0x3ff, v0                                // 000000002CA0: 260000FF 000003FF
	v_lshrrev_b32_e32 v3, 6, v0                                // 000000002CA8: 20060086
	v_and_b32_e32 v0, 63, v0                                   // 000000002CAC: 260000BF
	s_mov_b32 s47, s2                                          // 000000002CB0: BEAF0002
	s_mov_b32 s48, s3                                          // 000000002CB4: BEB00003
	v_readfirstlane_b32 s46, v3                                // 000000002CB8: 7E5C0503
	s_waitcnt lgkmcnt(0)                                       // 000000002CBC: BF8CC07F
	s_add_u32 s51, s44, 0x27f                                  // 000000002CC0: 8033FF2C 0000027F
	s_mov_b32 s63, 0x280                                       // 000000002CC8: BEBF00FF 00000280
	v_cvt_f32_u32_e32 v4, s63                                  // 000000002CD0: 7E080C3F
	s_sub_i32 s50, 0, s63                                      // 000000002CD4: 81B23F80
	v_rcp_iflag_f32_e32 v4, v4                                 // 000000002CD8: 7E084704
	s_nop 0                                                    // 000000002CDC: BF800000
	v_mul_f32_e32 v4, 0x4f7ffffe, v4                           // 000000002CE0: 0A0808FF 4F7FFFFE
	v_cvt_u32_f32_e32 v4, v4                                   // 000000002CE8: 7E080F04
	v_mul_lo_u32 v5, s50, v4                                   // 000000002CEC: D2850005 00020832
	v_mul_hi_u32 v5, v4, v5                                    // 000000002CF4: D2860005 00020B04
	v_add_u32_e32 v4, v4, v5                                   // 000000002CFC: 68080B04
	v_mul_hi_u32 v4, s51, v4                                   // 000000002D00: D2860004 00020833
	v_mul_lo_u32 v5, v4, s63                                   // 000000002D08: D2850005 00007F04
	v_sub_u32_e32 v7, s51, v5                                  // 000000002D10: 6A0E0A33
	v_add_u32_e32 v6, 1, v4                                    // 000000002D14: 680C0881
	v_cmp_le_u32_e32 vcc, s63, v7                              // 000000002D18: 7D960E3F
	v_subrev_u32_e32 v5, s63, v7                               // 000000002D1C: 6C0A0E3F
	s_nop 0                                                    // 000000002D20: BF800000
	v_cndmask_b32_e32 v4, v4, v6, vcc                          // 000000002D24: 00080D04
	v_cndmask_b32_e32 v7, v7, v5, vcc                          // 000000002D28: 000E0B07
	v_add_u32_e32 v5, 1, v4                                    // 000000002D2C: 680A0881
	v_cmp_le_u32_e32 vcc, s63, v7                              // 000000002D30: 7D960E3F
	s_nop 1                                                    // 000000002D34: BF800001
	v_cndmask_b32_e32 v7, v4, v5, vcc                          // 000000002D38: 000E0B04
	s_nop 3                                                    // 000000002D3C: BF800003
	v_readfirstlane_b32 s50, v7                                // 000000002D40: 7E640507
	s_nop 3                                                    // 000000002D44: BF800003
	s_mul_i32 s49, s50, s48                                    // 000000002D48: 92313032
	s_add_i32 s49, s49, s47                                    // 000000002D4C: 81312F31
	s_add_u32 s51, s43, 63                                     // 000000002D50: 8033BF2B
	s_lshr_b32 s62, s51, 6                                     // 000000002D54: 8F3E8633
	s_lshl_b32 s62, s62, 5                                     // 000000002D58: 8E3E853E
	s_mov_b32 s47, 0                                           // 000000002D5C: BEAF0080

0000000000002d60 <label_0058>:
	s_cmp_lt_i32 s49, s62                                      // 000000002D60: BF043E31
	s_cbranch_scc1 label_005D                                  // 000000002D64: BF850003
	s_sub_i32 s49, s49, s62                                    // 000000002D68: 81B13E31
	s_add_i32 s47, s47, 32                                     // 000000002D6C: 812FA02F
	s_branch label_0058                                        // 000000002D70: BF82FFFB

0000000000002d74 <label_005D>:
	s_sub_i32 s50, s50, s47                                    // 000000002D74: 81B22F32
	s_cmp_lt_i32 s50, 32                                       // 000000002D78: BF04A032
	s_cbranch_scc1 label_0063                                  // 000000002D7C: BF850003
	s_lshr_b32 s48, s49, 5                                     // 000000002D80: 8F308531
	s_and_b32 s62, s49, 31                                     // 000000002D84: 863E9F31
	s_branch label_0083                                        // 000000002D88: BF820020

0000000000002d8c <label_0063>:
	v_cvt_f32_u32_e32 v4, s50                                  // 000000002D8C: 7E080C32
	s_sub_i32 s48, 0, s50                                      // 000000002D90: 81B03280
	v_rcp_iflag_f32_e32 v4, v4                                 // 000000002D94: 7E084704
	s_nop 0                                                    // 000000002D98: BF800000
	v_mul_f32_e32 v4, 0x4f7ffffe, v4                           // 000000002D9C: 0A0808FF 4F7FFFFE
	v_cvt_u32_f32_e32 v4, v4                                   // 000000002DA4: 7E080F04
	v_mul_lo_u32 v5, s48, v4                                   // 000000002DA8: D2850005 00020830
	v_mul_hi_u32 v5, v4, v5                                    // 000000002DB0: D2860005 00020B04
	v_add_u32_e32 v4, v4, v5                                   // 000000002DB8: 68080B04
	v_mul_hi_u32 v4, s49, v4                                   // 000000002DBC: D2860004 00020831
	v_mul_lo_u32 v5, v4, s50                                   // 000000002DC4: D2850005 00006504
	v_sub_u32_e32 v7, s49, v5                                  // 000000002DCC: 6A0E0A31
	v_add_u32_e32 v6, 1, v4                                    // 000000002DD0: 680C0881
	v_cmp_le_u32_e32 vcc, s50, v7                              // 000000002DD4: 7D960E32
	v_subrev_u32_e32 v5, s50, v7                               // 000000002DD8: 6C0A0E32
	s_nop 0                                                    // 000000002DDC: BF800000
	v_cndmask_b32_e32 v4, v4, v6, vcc                          // 000000002DE0: 00080D04
	v_cndmask_b32_e32 v7, v7, v5, vcc                          // 000000002DE4: 000E0B07
	v_add_u32_e32 v5, 1, v4                                    // 000000002DE8: 680A0881
	v_cmp_le_u32_e32 vcc, s50, v7                              // 000000002DEC: 7D960E32
	s_nop 1                                                    // 000000002DF0: BF800001
	v_cndmask_b32_e32 v7, v4, v5, vcc                          // 000000002DF4: 000E0B04
	s_nop 3                                                    // 000000002DF8: BF800003
	v_readfirstlane_b32 s48, v7                                // 000000002DFC: 7E600507
	s_nop 3                                                    // 000000002E00: BF800003
	s_mul_i32 s62, s50, s48                                    // 000000002E04: 923E3032
	s_sub_i32 s62, s49, s62                                    // 000000002E08: 81BE3E31

0000000000002e0c <label_0083>:
	s_add_i32 s47, s62, s47                                    // 000000002E0C: 812F2F3E
	s_lshr_b32 s37, s37, 1                                     // 000000002E10: 8F258125
	s_mul_i32 s62, s48, 64                                     // 000000002E14: 923EC030
	s_mul_hi_u32 s63, s37, s62                                 // 000000002E18: 963F3E25
	s_add_u32 s13, s13, s63                                    // 000000002E1C: 800D3F0D
	s_mul_i32 s63, s37, s62                                    // 000000002E20: 923F3E25
	s_add_u32 s12, s12, s63                                    // 000000002E24: 800C3F0C
	s_addc_u32 s13, s13, 0                                     // 000000002E28: 820D800D
	s_sub_i32 s63, s43, s62                                    // 000000002E2C: 81BF3E2B
	s_cmp_lt_u32 s63, 64                                       // 000000002E30: BF0AC03F
	s_cselect_b32 s62, s63, 64                                 // 000000002E34: 853EC03F
	s_mul_i32 s14, s37, s62                                    // 000000002E38: 920E3E25
	s_mov_b32 s15, 0x20000                                     // 000000002E3C: BE8F00FF 00020000
	v_lshrrev_b32_e32 v4, 3, v0                                // 000000002E44: 20080083
	v_lshrrev_b32_e32 v5, 2, v4                                // 000000002E48: 200A0882
	v_lshlrev_b32_e32 v5, 4, v5                                // 000000002E4C: 240A0A84
	v_and_b32_e32 v4, 3, v4                                    // 000000002E50: 26080883
	v_lshrrev_b32_e32 v6, 1, v4                                // 000000002E54: 200C0881
	v_lshlrev_b32_e32 v6, 2, v6                                // 000000002E58: 240C0C82
	v_add_u32_e32 v5, v5, v6                                   // 000000002E5C: 680A0D05
	v_and_b32_e32 v4, 1, v4                                    // 000000002E60: 26080881
	v_add_u32_e32 v5, v5, v4                                   // 000000002E64: 680A0905
	v_mul_lo_u32 v161, s37, v5                                 // 000000002E68: D28500A1 00020A25
	v_and_b32_e32 v4, 7, v0                                    // 000000002E70: 26080087
	v_lshlrev_b32_e32 v4, 4, v4                                // 000000002E74: 24080884
	v_add_u32_e32 v161, v4, v161                               // 000000002E78: 69434304
	s_lshr_b32 s62, s46, 1                                     // 000000002E7C: 8F3E812E
	s_mul_i32 s62, s62, 8                                      // 000000002E80: 923E883E
	s_and_b32 s63, s46, 1                                      // 000000002E84: 863F812E
	s_mul_i32 s63, s63, 2                                      // 000000002E88: 923F823F
	s_add_u32 s62, s62, s63                                    // 000000002E8C: 803E3F3E
	s_mul_i32 s62, s37, s62                                    // 000000002E90: 923E3E25
	v_add_u32_e32 v161, s62, v161                              // 000000002E94: 6943423E
	s_mul_i32 s62, s37, 32                                     // 000000002E98: 923EA025
	v_add_u32_e32 v162, s62, v161                              // 000000002E9C: 6945423E
	s_mul_i32 s64, 0x420, s46                                  // 000000002EA0: 92402EFF 00000420
	s_add_u32 s64, 0x800, s64                                  // 000000002EA8: 804040FF 00000800
	v_and_b32_e32 v4, 15, v0                                   // 000000002EB0: 2608008F
	v_lshrrev_b32_e32 v5, 3, v4                                // 000000002EB4: 200A0883
	v_mul_i32_i24_e32 v5, 2, v5                                // 000000002EB8: 0C0A0A82
	v_and_b32_e32 v4, 3, v0                                    // 000000002EBC: 26080083
	v_lshrrev_b32_e32 v6, 1, v4                                // 000000002EC0: 200C0881
	v_add_u32_e32 v4, v5, v6                                   // 000000002EC4: 68080D05
	v_mul_i32_i24_e32 v163, 0x420, v4                          // 000000002EC8: 0D4608FF 00000420
	v_and_b32_e32 v4, 7, v0                                    // 000000002ED0: 26080087
	v_lshrrev_b32_e32 v5, 2, v4                                // 000000002ED4: 200A0882
	v_mul_i32_i24_e32 v5, 0x100, v5                            // 000000002ED8: 0C0A0AFF 00000100
	v_add_u32_e32 v163, v5, v163                               // 000000002EE0: 69474705
	v_and_b32_e32 v4, 1, v0                                    // 000000002EE4: 26080081
	v_mul_i32_i24_e32 v6, 0x80, v4                             // 000000002EE8: 0C0C08FF 00000080
	v_add_u32_e32 v163, v6, v163                               // 000000002EF0: 69474706
	v_lshrrev_b32_e32 v4, 4, v0                                // 000000002EF4: 20080084
	v_mul_i32_i24_e32 v4, 16, v4                               // 000000002EF8: 0C080890
	v_add_u32_e32 v163, v4, v163                               // 000000002EFC: 69474704
	v_add_u32_e32 v163, 0x800, v163                            // 000000002F00: 694746FF 00000800
	v_add_u32_e32 v164, 0x2100, v163                           // 000000002F08: 694946FF 00002100
	s_mul_i32 s62, s48, 64                                     // 000000002F10: 923EC030
	s_mul_hi_u32 s63, s39, s62                                 // 000000002F14: 963F3E27
	s_add_u32 s21, s21, s63                                    // 000000002F18: 80153F15
	s_mul_i32 s63, s39, s62                                    // 000000002F1C: 923F3E27
	s_add_u32 s20, s20, s63                                    // 000000002F20: 80143F14
	s_addc_u32 s21, s21, 0                                     // 000000002F24: 82158015
	s_add_u32 s63, s43, 31                                     // 000000002F28: 803F9F2B
	s_lshr_b32 s63, s63, 5                                     // 000000002F2C: 8F3F853F
	s_lshl_b32 s63, s63, 5                                     // 000000002F30: 8E3F853F
	s_sub_i32 s63, s63, s62                                    // 000000002F34: 81BF3E3F
	s_cmp_lt_u32 s63, 64                                       // 000000002F38: BF0AC03F
	s_cselect_b32 s62, s63, 64                                 // 000000002F3C: 853EC03F
	s_mul_i32 s22, s39, s62                                    // 000000002F40: 92163E27
	s_mov_b32 s23, 0x20000                                     // 000000002F44: BE9700FF 00020000
	v_lshlrev_b32_e32 v165, 2, v0                              // 000000002F4C: 254A0082
	s_mul_i32 s63, s46, 32                                     // 000000002F50: 923FA02E
	s_mul_i32 s63, s63, s39                                    // 000000002F54: 923F273F
	v_add_u32_e32 v165, s63, v165                              // 000000002F58: 694B4A3F
	s_mul_i32 s65, s46, 0x100                                  // 000000002F5C: 9241FF2E 00000100
	s_add_i32 s65, s65, 0                                      // 000000002F64: 81418041
	v_lshlrev_b32_e32 v166, 2, v0                              // 000000002F68: 254C0082
	v_add_u32_e32 v166, 0, v166                                // 000000002F6C: 694D4C80
	s_lshr_b32 s38, s38, 1                                     // 000000002F70: 8F268126
	s_mul_i32 s62, s47, 0x280                                  // 000000002F74: 923EFF2F 00000280
	s_mul_hi_u32 s63, s38, s62                                 // 000000002F7C: 963F3E26
	s_add_u32 s17, s17, s63                                    // 000000002F80: 80113F11
	s_mul_i32 s63, s38, s62                                    // 000000002F84: 923F3E26
	s_add_u32 s16, s16, s63                                    // 000000002F88: 80103F10
	s_addc_u32 s17, s17, 0                                     // 000000002F8C: 82118011
	s_sub_i32 s63, s44, s62                                    // 000000002F90: 81BF3E2C
	s_cmp_lt_u32 s63, 0x280                                    // 000000002F94: BF0AFF3F 00000280
	s_cselect_b32 s62, s63, 0x280                              // 000000002F9C: 853EFF3F 00000280
	s_mul_i32 s18, s38, s62                                    // 000000002FA4: 92123E26
	s_mov_b32 s19, 0x20000                                     // 000000002FA8: BE9300FF 00020000
	v_lshlrev_b32_e32 v167, 4, v0                              // 000000002FB0: 254E0084
	s_mul_i32 s63, s46, 0xa0                                   // 000000002FB4: 923FFF2E 000000A0
	s_mul_i32 s62, s63, s38                                    // 000000002FBC: 923E263F
	v_add_u32_e32 v167, s62, v167                              // 000000002FC0: 694F4E3E
	s_mul_i32 s62, 16, s38                                     // 000000002FC4: 923E2690
	v_add_u32_e32 v168, s62, v167                              // 000000002FC8: 69514E3E
	v_add_u32_e32 v169, s62, v168                              // 000000002FCC: 6953503E
	v_add_u32_e32 v170, s62, v169                              // 000000002FD0: 6955523E
	v_add_u32_e32 v171, s62, v170                              // 000000002FD4: 6957543E
	v_add_u32_e32 v172, s62, v171                              // 000000002FD8: 6959563E
	v_add_u32_e32 v173, s62, v172                              // 000000002FDC: 695B583E
	v_add_u32_e32 v174, s62, v173                              // 000000002FE0: 695D5A3E
	v_add_u32_e32 v175, s62, v174                              // 000000002FE4: 695F5C3E
	v_add_u32_e32 v176, s62, v175                              // 000000002FE8: 69615E3E
	s_mul_i32 s62, s47, 0x280                                  // 000000002FEC: 923EFF2F 00000280
	s_mul_hi_u32 s63, s40, s62                                 // 000000002FF4: 963F3E28
	s_add_u32 s25, s25, s63                                    // 000000002FF8: 80193F19
	s_mul_i32 s63, s40, s62                                    // 000000002FFC: 923F3E28
	s_add_u32 s24, s24, s63                                    // 000000003000: 80183F18
	s_addc_u32 s25, s25, 0                                     // 000000003004: 82198019
	s_sub_i32 s63, s44, s62                                    // 000000003008: 81BF3E2C
	s_cmp_lt_u32 s63, 0x280                                    // 00000000300C: BF0AFF3F 00000280
	s_cselect_b32 s62, s63, 0x280                              // 000000003014: 853EFF3F 00000280
	s_mul_i32 s26, s40, s62                                    // 00000000301C: 921A3E28
	s_mov_b32 s27, 0x20000                                     // 000000003020: BE9B00FF 00020000
	v_lshlrev_b32_e32 v177, 2, v0                              // 000000003028: 25620082
	s_mul_i32 s63, s46, 0xa0                                   // 00000000302C: 923FFF2E 000000A0
	s_mul_i32 s63, s63, s40                                    // 000000003034: 923F283F
	v_add_u32_e32 v177, s63, v177                              // 000000003038: 6963623F
	s_mul_i32 s62, 32, s40                                     // 00000000303C: 923E28A0
	v_add_u32_e32 v178, s62, v177                              // 000000003040: 6965623E
	v_add_u32_e32 v179, s62, v178                              // 000000003044: 6967643E
	v_add_u32_e32 v180, s62, v179                              // 000000003048: 6969663E
	v_add_u32_e32 v181, s62, v180                              // 00000000304C: 696B683E
	s_mov_b32 s66, 0x80                                        // 000000003050: BEC200FF 00000080
	s_mov_b32 s67, 0x800                                       // 000000003058: BEC300FF 00000800
	s_mov_b32 s68, 0x100                                       // 000000003060: BEC400FF 00000100
	s_mov_b32 s69, 0x100                                       // 000000003068: BEC500FF 00000100
	s_mov_b32 s60, 0                                           // 000000003070: BEBC0080
	s_mov_b32 s61, s45                                         // 000000003074: BEBD002D
	s_add_u32 m0, 0, s65                                       // 000000003078: 807C4180
	buffer_load_dword v165, s[20:23], 0 offen lds              // 00000000307C: E0511000 800500A5
	v_accvgpr_write_b32 a0, 0                                  // 000000003084: D3D94000 18000080
	v_accvgpr_write_b32 a1, 0                                  // 00000000308C: D3D94001 18000080
	v_accvgpr_write_b32 a2, 0                                  // 000000003094: D3D94002 18000080
	v_accvgpr_write_b32 a3, 0                                  // 00000000309C: D3D94003 18000080
	v_accvgpr_write_b32 a4, 0                                  // 0000000030A4: D3D94004 18000080
	v_accvgpr_write_b32 a5, 0                                  // 0000000030AC: D3D94005 18000080
	s_add_u32 m0, 0, s64                                       // 0000000030B4: 807C4080
	buffer_load_dwordx4 v161, s[12:15], 0 offen lds            // 0000000030B8: E05D1000 800300A1
	v_accvgpr_write_b32 a6, 0                                  // 0000000030C0: D3D94006 18000080
	v_accvgpr_write_b32 a7, 0                                  // 0000000030C8: D3D94007 18000080
	v_accvgpr_write_b32 a8, 0                                  // 0000000030D0: D3D94008 18000080
	v_accvgpr_write_b32 a9, 0                                  // 0000000030D8: D3D94009 18000080
	v_accvgpr_write_b32 a10, 0                                 // 0000000030E0: D3D9400A 18000080
	v_accvgpr_write_b32 a11, 0                                 // 0000000030E8: D3D9400B 18000080
	s_add_u32 m0, 0x1080, s64                                  // 0000000030F0: 807C40FF 00001080
	buffer_load_dwordx4 v162, s[12:15], 0 offen lds            // 0000000030F8: E05D1000 800300A2
	v_accvgpr_write_b32 a12, 0                                 // 000000003100: D3D9400C 18000080
	v_accvgpr_write_b32 a13, 0                                 // 000000003108: D3D9400D 18000080
	v_accvgpr_write_b32 a14, 0                                 // 000000003110: D3D9400E 18000080
	v_accvgpr_write_b32 a15, 0                                 // 000000003118: D3D9400F 18000080
	v_accvgpr_write_b32 a16, 0                                 // 000000003120: D3D94010 18000080
	v_accvgpr_write_b32 a17, 0                                 // 000000003128: D3D94011 18000080
	buffer_load_dwordx4 v[72:75], v167, s[16:19], 0 offen      // 000000003130: E05C1000 800448A7
	v_accvgpr_write_b32 a18, 0                                 // 000000003138: D3D94012 18000080
	v_accvgpr_write_b32 a19, 0                                 // 000000003140: D3D94013 18000080
	v_accvgpr_write_b32 a20, 0                                 // 000000003148: D3D94014 18000080
	v_accvgpr_write_b32 a21, 0                                 // 000000003150: D3D94015 18000080
	v_accvgpr_write_b32 a22, 0                                 // 000000003158: D3D94016 18000080
	v_accvgpr_write_b32 a23, 0                                 // 000000003160: D3D94017 18000080
	buffer_load_dwordx4 v[76:79], v168, s[16:19], 0 offen      // 000000003168: E05C1000 80044CA8
	v_accvgpr_write_b32 a24, 0                                 // 000000003170: D3D94018 18000080
	v_accvgpr_write_b32 a25, 0                                 // 000000003178: D3D94019 18000080
	v_accvgpr_write_b32 a26, 0                                 // 000000003180: D3D9401A 18000080
	v_accvgpr_write_b32 a27, 0                                 // 000000003188: D3D9401B 18000080
	v_accvgpr_write_b32 a28, 0                                 // 000000003190: D3D9401C 18000080
	v_accvgpr_write_b32 a29, 0                                 // 000000003198: D3D9401D 18000080
	buffer_load_dwordx4 v[80:83], v167, s[16:19], 0 offen offset:1024// 0000000031A0: E05C1400 800450A7
	v_accvgpr_write_b32 a30, 0                                 // 0000000031A8: D3D9401E 18000080
	v_accvgpr_write_b32 a31, 0                                 // 0000000031B0: D3D9401F 18000080
	v_accvgpr_write_b32 a32, 0                                 // 0000000031B8: D3D94020 18000080
	v_accvgpr_write_b32 a33, 0                                 // 0000000031C0: D3D94021 18000080
	v_accvgpr_write_b32 a34, 0                                 // 0000000031C8: D3D94022 18000080
	v_accvgpr_write_b32 a35, 0                                 // 0000000031D0: D3D94023 18000080
	buffer_load_dwordx4 v[84:87], v168, s[16:19], 0 offen offset:1024// 0000000031D8: E05C1400 800454A8
	v_accvgpr_write_b32 a36, 0                                 // 0000000031E0: D3D94024 18000080
	v_accvgpr_write_b32 a37, 0                                 // 0000000031E8: D3D94025 18000080
	v_accvgpr_write_b32 a38, 0                                 // 0000000031F0: D3D94026 18000080
	v_accvgpr_write_b32 a39, 0                                 // 0000000031F8: D3D94027 18000080
	v_accvgpr_write_b32 a40, 0                                 // 000000003200: D3D94028 18000080
	v_accvgpr_write_b32 a41, 0                                 // 000000003208: D3D94029 18000080
	buffer_load_dword v156, v177, s[24:27], 0 offen            // 000000003210: E0501000 80069CB1
	v_accvgpr_write_b32 a42, 0                                 // 000000003218: D3D9402A 18000080
	v_accvgpr_write_b32 a43, 0                                 // 000000003220: D3D9402B 18000080
	v_accvgpr_write_b32 a44, 0                                 // 000000003228: D3D9402C 18000080
	v_accvgpr_write_b32 a45, 0                                 // 000000003230: D3D9402D 18000080
	v_accvgpr_write_b32 a46, 0                                 // 000000003238: D3D9402E 18000080
	v_accvgpr_write_b32 a47, 0                                 // 000000003240: D3D9402F 18000080
	s_add_u32 s62, 0x100, s60                                  // 000000003248: 803E3CFF 00000100
	s_cmp_lt_u32 s62, s61                                      // 000000003250: BF0A3D3E
	s_cselect_b32 s66, s66, 0                                  // 000000003254: 85428042
	s_cselect_b32 s68, s68, 0                                  // 000000003258: 85448044
	s_add_u32 s12, s12, s66                                    // 00000000325C: 800C420C
	s_addc_u32 s13, 0, s13                                     // 000000003260: 820D0D80
	s_sub_u32 s14, s14, s66                                    // 000000003264: 808E420E
	s_add_u32 s20, s20, s68                                    // 000000003268: 80144414
	s_addc_u32 s21, 0, s21                                     // 00000000326C: 82151580
	s_sub_u32 s22, s22, s68                                    // 000000003270: 80964416
	buffer_load_dwordx4 v[88:91], v169, s[16:19], 0 offen      // 000000003274: E05C1000 800458A9
	v_accvgpr_write_b32 a48, 0                                 // 00000000327C: D3D94030 18000080
	v_accvgpr_write_b32 a49, 0                                 // 000000003284: D3D94031 18000080
	v_accvgpr_write_b32 a50, 0                                 // 00000000328C: D3D94032 18000080
	v_accvgpr_write_b32 a51, 0                                 // 000000003294: D3D94033 18000080
	v_accvgpr_write_b32 a52, 0                                 // 00000000329C: D3D94034 18000080
	v_accvgpr_write_b32 a53, 0                                 // 0000000032A4: D3D94035 18000080
	buffer_load_dwordx4 v[92:95], v170, s[16:19], 0 offen      // 0000000032AC: E05C1000 80045CAA
	v_accvgpr_write_b32 a54, 0                                 // 0000000032B4: D3D94036 18000080
	v_accvgpr_write_b32 a55, 0                                 // 0000000032BC: D3D94037 18000080
	v_accvgpr_write_b32 a56, 0                                 // 0000000032C4: D3D94038 18000080
	v_accvgpr_write_b32 a57, 0                                 // 0000000032CC: D3D94039 18000080
	v_accvgpr_write_b32 a58, 0                                 // 0000000032D4: D3D9403A 18000080
	v_accvgpr_write_b32 a59, 0                                 // 0000000032DC: D3D9403B 18000080
	buffer_load_dwordx4 v[96:99], v169, s[16:19], 0 offen offset:1024// 0000000032E4: E05C1400 800460A9
	v_accvgpr_write_b32 a60, 0                                 // 0000000032EC: D3D9403C 18000080
	v_accvgpr_write_b32 a61, 0                                 // 0000000032F4: D3D9403D 18000080
	v_accvgpr_write_b32 a62, 0                                 // 0000000032FC: D3D9403E 18000080
	v_accvgpr_write_b32 a63, 0                                 // 000000003304: D3D9403F 18000080
	v_accvgpr_write_b32 a64, 0                                 // 00000000330C: D3D94040 18000080
	v_accvgpr_write_b32 a65, 0                                 // 000000003314: D3D94041 18000080
	buffer_load_dwordx4 v[100:103], v170, s[16:19], 0 offen offset:1024// 00000000331C: E05C1400 800464AA
	v_accvgpr_write_b32 a66, 0                                 // 000000003324: D3D94042 18000080
	v_accvgpr_write_b32 a67, 0                                 // 00000000332C: D3D94043 18000080
	v_accvgpr_write_b32 a68, 0                                 // 000000003334: D3D94044 18000080
	v_accvgpr_write_b32 a69, 0                                 // 00000000333C: D3D94045 18000080
	v_accvgpr_write_b32 a70, 0                                 // 000000003344: D3D94046 18000080
	v_accvgpr_write_b32 a71, 0                                 // 00000000334C: D3D94047 18000080
	buffer_load_dword v157, v178, s[24:27], 0 offen            // 000000003354: E0501000 80069DB2
	v_accvgpr_write_b32 a72, 0                                 // 00000000335C: D3D94048 18000080
	v_accvgpr_write_b32 a73, 0                                 // 000000003364: D3D94049 18000080
	v_accvgpr_write_b32 a74, 0                                 // 00000000336C: D3D9404A 18000080
	v_accvgpr_write_b32 a75, 0                                 // 000000003374: D3D9404B 18000080
	v_accvgpr_write_b32 a76, 0                                 // 00000000337C: D3D9404C 18000080
	v_accvgpr_write_b32 a77, 0                                 // 000000003384: D3D9404D 18000080
	buffer_load_dwordx4 v[104:107], v171, s[16:19], 0 offen    // 00000000338C: E05C1000 800468AB
	v_accvgpr_write_b32 a78, 0                                 // 000000003394: D3D9404E 18000080
	v_accvgpr_write_b32 a79, 0                                 // 00000000339C: D3D9404F 18000080
	v_accvgpr_write_b32 a80, 0                                 // 0000000033A4: D3D94050 18000080
	v_accvgpr_write_b32 a81, 0                                 // 0000000033AC: D3D94051 18000080
	v_accvgpr_write_b32 a82, 0                                 // 0000000033B4: D3D94052 18000080
	v_accvgpr_write_b32 a83, 0                                 // 0000000033BC: D3D94053 18000080
	buffer_load_dwordx4 v[108:111], v172, s[16:19], 0 offen    // 0000000033C4: E05C1000 80046CAC
	v_accvgpr_write_b32 a84, 0                                 // 0000000033CC: D3D94054 18000080
	v_accvgpr_write_b32 a85, 0                                 // 0000000033D4: D3D94055 18000080
	v_accvgpr_write_b32 a86, 0                                 // 0000000033DC: D3D94056 18000080
	v_accvgpr_write_b32 a87, 0                                 // 0000000033E4: D3D94057 18000080
	v_accvgpr_write_b32 a88, 0                                 // 0000000033EC: D3D94058 18000080
	v_accvgpr_write_b32 a89, 0                                 // 0000000033F4: D3D94059 18000080
	buffer_load_dwordx4 v[112:115], v171, s[16:19], 0 offen offset:1024// 0000000033FC: E05C1400 800470AB
	v_accvgpr_write_b32 a90, 0                                 // 000000003404: D3D9405A 18000080
	v_accvgpr_write_b32 a91, 0                                 // 00000000340C: D3D9405B 18000080
	v_accvgpr_write_b32 a92, 0                                 // 000000003414: D3D9405C 18000080
	v_accvgpr_write_b32 a93, 0                                 // 00000000341C: D3D9405D 18000080
	v_accvgpr_write_b32 a94, 0                                 // 000000003424: D3D9405E 18000080
	v_accvgpr_write_b32 a95, 0                                 // 00000000342C: D3D9405F 18000080
	buffer_load_dwordx4 v[116:119], v172, s[16:19], 0 offen offset:1024// 000000003434: E05C1400 800474AC
	v_accvgpr_write_b32 a96, 0                                 // 00000000343C: D3D94060 18000080
	v_accvgpr_write_b32 a97, 0                                 // 000000003444: D3D94061 18000080
	v_accvgpr_write_b32 a98, 0                                 // 00000000344C: D3D94062 18000080
	v_accvgpr_write_b32 a99, 0                                 // 000000003454: D3D94063 18000080
	v_accvgpr_write_b32 a100, 0                                // 00000000345C: D3D94064 18000080
	v_accvgpr_write_b32 a101, 0                                // 000000003464: D3D94065 18000080
	buffer_load_dword v158, v179, s[24:27], 0 offen            // 00000000346C: E0501000 80069EB3
	v_accvgpr_write_b32 a102, 0                                // 000000003474: D3D94066 18000080
	v_accvgpr_write_b32 a103, 0                                // 00000000347C: D3D94067 18000080
	v_accvgpr_write_b32 a104, 0                                // 000000003484: D3D94068 18000080
	v_accvgpr_write_b32 a105, 0                                // 00000000348C: D3D94069 18000080
	v_accvgpr_write_b32 a106, 0                                // 000000003494: D3D9406A 18000080
	v_accvgpr_write_b32 a107, 0                                // 00000000349C: D3D9406B 18000080
	v_accvgpr_write_b32 a108, 0                                // 0000000034A4: D3D9406C 18000080
	v_accvgpr_write_b32 a109, 0                                // 0000000034AC: D3D9406D 18000080
	v_accvgpr_write_b32 a110, 0                                // 0000000034B4: D3D9406E 18000080
	v_accvgpr_write_b32 a111, 0                                // 0000000034BC: D3D9406F 18000080
	v_accvgpr_write_b32 a112, 0                                // 0000000034C4: D3D94070 18000080
	v_accvgpr_write_b32 a113, 0                                // 0000000034CC: D3D94071 18000080
	v_accvgpr_write_b32 a114, 0                                // 0000000034D4: D3D94072 18000080
	v_accvgpr_write_b32 a115, 0                                // 0000000034DC: D3D94073 18000080
	v_accvgpr_write_b32 a116, 0                                // 0000000034E4: D3D94074 18000080
	v_accvgpr_write_b32 a117, 0                                // 0000000034EC: D3D94075 18000080
	v_accvgpr_write_b32 a118, 0                                // 0000000034F4: D3D94076 18000080
	v_accvgpr_write_b32 a119, 0                                // 0000000034FC: D3D94077 18000080
	v_accvgpr_write_b32 a120, 0                                // 000000003504: D3D94078 18000080
	v_accvgpr_write_b32 a121, 0                                // 00000000350C: D3D94079 18000080
	v_accvgpr_write_b32 a122, 0                                // 000000003514: D3D9407A 18000080
	v_accvgpr_write_b32 a123, 0                                // 00000000351C: D3D9407B 18000080
	v_accvgpr_write_b32 a124, 0                                // 000000003524: D3D9407C 18000080
	v_accvgpr_write_b32 a125, 0                                // 00000000352C: D3D9407D 18000080
	v_accvgpr_write_b32 a126, 0                                // 000000003534: D3D9407E 18000080
	v_accvgpr_write_b32 a127, 0                                // 00000000353C: D3D9407F 18000080
	v_accvgpr_write_b32 a128, 0                                // 000000003544: D3D94080 18000080
	v_accvgpr_write_b32 a129, 0                                // 00000000354C: D3D94081 18000080
	v_accvgpr_write_b32 a130, 0                                // 000000003554: D3D94082 18000080
	v_accvgpr_write_b32 a131, 0                                // 00000000355C: D3D94083 18000080
	v_accvgpr_write_b32 a132, 0                                // 000000003564: D3D94084 18000080
	v_accvgpr_write_b32 a133, 0                                // 00000000356C: D3D94085 18000080
	v_accvgpr_write_b32 a134, 0                                // 000000003574: D3D94086 18000080
	v_accvgpr_write_b32 a135, 0                                // 00000000357C: D3D94087 18000080
	v_accvgpr_write_b32 a136, 0                                // 000000003584: D3D94088 18000080
	v_accvgpr_write_b32 a137, 0                                // 00000000358C: D3D94089 18000080
	v_accvgpr_write_b32 a138, 0                                // 000000003594: D3D9408A 18000080
	v_accvgpr_write_b32 a139, 0                                // 00000000359C: D3D9408B 18000080
	v_accvgpr_write_b32 a140, 0                                // 0000000035A4: D3D9408C 18000080
	v_accvgpr_write_b32 a141, 0                                // 0000000035AC: D3D9408D 18000080
	v_accvgpr_write_b32 a142, 0                                // 0000000035B4: D3D9408E 18000080
	v_accvgpr_write_b32 a143, 0                                // 0000000035BC: D3D9408F 18000080
	v_accvgpr_write_b32 a144, 0                                // 0000000035C4: D3D94090 18000080
	v_accvgpr_write_b32 a145, 0                                // 0000000035CC: D3D94091 18000080
	v_accvgpr_write_b32 a146, 0                                // 0000000035D4: D3D94092 18000080
	v_accvgpr_write_b32 a147, 0                                // 0000000035DC: D3D94093 18000080
	v_accvgpr_write_b32 a148, 0                                // 0000000035E4: D3D94094 18000080
	v_accvgpr_write_b32 a149, 0                                // 0000000035EC: D3D94095 18000080
	v_accvgpr_write_b32 a150, 0                                // 0000000035F4: D3D94096 18000080
	v_accvgpr_write_b32 a151, 0                                // 0000000035FC: D3D94097 18000080
	v_accvgpr_write_b32 a152, 0                                // 000000003604: D3D94098 18000080
	v_accvgpr_write_b32 a153, 0                                // 00000000360C: D3D94099 18000080
	v_accvgpr_write_b32 a154, 0                                // 000000003614: D3D9409A 18000080
	v_accvgpr_write_b32 a155, 0                                // 00000000361C: D3D9409B 18000080
	v_accvgpr_write_b32 a156, 0                                // 000000003624: D3D9409C 18000080
	v_accvgpr_write_b32 a157, 0                                // 00000000362C: D3D9409D 18000080
	v_accvgpr_write_b32 a158, 0                                // 000000003634: D3D9409E 18000080
	v_accvgpr_write_b32 a159, 0                                // 00000000363C: D3D9409F 18000080
	s_waitcnt vmcnt(15)                                        // 000000003644: BF8C0F7F
	s_barrier                                                  // 000000003648: BF8A0000
	ds_read_b128 v[8:11], v163                                 // 00000000364C: D9FE0000 080000A3
	ds_read_b128 v[16:19], v163 offset:64                      // 000000003654: D9FE0040 100000A3
	ds_read_b128 v[12:15], v163 offset:512                     // 00000000365C: D9FE0200 0C0000A3
	ds_read_b128 v[20:23], v163 offset:576                     // 000000003664: D9FE0240 140000A3
	ds_read_b32 v152, v166                                     // 00000000366C: D86C0000 980000A6
	ds_read_b128 v[24:27], v163 offset:4224                    // 000000003674: D9FE1080 180000A3
	ds_read_b128 v[32:35], v163 offset:4288                    // 00000000367C: D9FE10C0 200000A3
	ds_read_b128 v[28:31], v163 offset:4736                    // 000000003684: D9FE1280 1C0000A3
	ds_read_b128 v[36:39], v163 offset:4800                    // 00000000368C: D9FE12C0 240000A3
	ds_read_b32 v153, v166 offset:256                          // 000000003694: D86C0100 990000A6
	s_nop 0                                                    // 00000000369C: BF800000
	s_nop 0                                                    // 0000000036A0: BF800000
	s_nop 0                                                    // 0000000036A4: BF800000
	s_nop 0                                                    // 0000000036A8: BF800000
	s_nop 0                                                    // 0000000036AC: BF800000
	s_lshl_b32 s36, s36, 1                                     // 0000000036B0: 8E248124
	s_mul_i32 s62, s48, 64                                     // 0000000036B4: 923EC030
	s_mul_hi_u32 s63, s36, s62                                 // 0000000036B8: 963F3E24
	s_add_u32 s5, s5, s63                                      // 0000000036BC: 80053F05
	s_mul_i32 s63, s36, s62                                    // 0000000036C0: 923F3E24
	s_add_u32 s4, s4, s63                                      // 0000000036C4: 80043F04
	s_addc_u32 s5, s5, 0                                       // 0000000036C8: 82058005
	s_mul_i32 s63, s47, 0x280                                  // 0000000036CC: 923FFF2F 00000280
	s_lshl_b32 s63, s63, 1                                     // 0000000036D4: 8E3F813F
	s_add_u32 s4, s4, s63                                      // 0000000036D8: 80043F04
	s_addc_u32 s5, s5, 0                                       // 0000000036DC: 82058005
	s_sub_i32 s62, s43, s62                                    // 0000000036E0: 81BE3E2B
	s_cmp_lt_u32 s62, 64                                       // 0000000036E4: BF0AC03E
	s_cselect_b32 s62, s62, 64                                 // 0000000036E8: 853EC03E
	s_mul_i32 s62, s36, s62                                    // 0000000036EC: 923E3E24
	s_sub_i32 s6, s62, s63                                     // 0000000036F0: 81863F3E
	s_mov_b32 s7, 0x20000                                      // 0000000036F4: BE8700FF 00020000
	s_mul_i32 s62, s46, 0xa0                                   // 0000000036FC: 923EFF2E 000000A0
	s_lshl_b32 s62, s62, 1                                     // 000000003704: 8E3E813E
	v_lshrrev_b32_e32 v4, 5, v0                                // 000000003708: 20080085
	v_mul_i32_i24_e32 v4, 16, v4                               // 00000000370C: 0C080890
	v_lshrrev_b32_e32 v5, 4, v0                                // 000000003710: 200A0084
	v_and_b32_e32 v5, 1, v5                                    // 000000003714: 260A0A81
	v_mul_i32_i24_e32 v5, 32, v5                               // 000000003718: 0C0A0AA0
	v_add_u32_e32 v4, v4, v5                                   // 00000000371C: 68080B04
	v_and_b32_e32 v5, 15, v0                                   // 000000003720: 260A008F
	v_mul_lo_u32 v182, s36, v5                                 // 000000003724: D28500B6 00020A24
	v_add_u32_e32 v182, s62, v182                              // 00000000372C: 696D6C3E
	v_add_u32_e32 v182, v4, v182                               // 000000003730: 696D6D04
	s_cmp_lt_i32 s46, 2                                        // 000000003734: BF04822E
	s_cbranch_scc0 label_0632                                  // 000000003738: BF840363

000000000000373c <label_02CF>:
	s_waitcnt vmcnt(10) lgkmcnt(5)                             // 00000000373C: BF8C057A
	v_mfma_scale_f32_16x16x128_f8f6f4 a[0:3], v[72:75], v[8:11], a[0:3], v156, v152 op_sel_hi:[0,0,0] cbsz:4 blgp:4// 000000003740: D3AC6000 0003319C D3AD8C00 84021148
	v_mfma_scale_f32_16x16x128_f8f6f4 a[4:7], v[72:75], v[12:15], a[4:7], v156, v152 op_sel_hi:[0,0,0] cbsz:4 blgp:4// 000000003750: D3AC7000 0003319C D3AD8C04 84121948
	buffer_load_dwordx4 v[120:123], v173, s[16:19], 0 offen    // 000000003760: E05C1000 800478AD
	v_mfma_scale_f32_16x16x128_f8f6f4 a[8:11], v[76:79], v[8:11], a[8:11], v156, v152 op_sel_hi:[0,0,0] cbsz:4 blgp:4// 000000003768: D3AC6800 0003319C D3AD8C08 8422114C
	v_mfma_scale_f32_16x16x128_f8f6f4 a[12:15], v[76:79], v[12:15], a[12:15], v156, v152 op_sel_hi:[0,0,0] cbsz:4 blgp:4// 000000003778: D3AC7800 0003319C D3AD8C0C 8432194C
	buffer_load_dwordx4 v[124:127], v174, s[16:19], 0 offen    // 000000003788: E05C1000 80047CAE
	v_mfma_scale_f32_16x16x128_f8f6f4 a[0:3], v[80:83], v[16:19], a[0:3], v156, v152 op_sel_hi:[0,0,0] cbsz:4 blgp:4// 000000003790: D3AC6000 1803319C D3AD8C00 84022150
	v_mfma_scale_f32_16x16x128_f8f6f4 a[4:7], v[80:83], v[20:23], a[4:7], v156, v152 op_sel_hi:[0,0,0] cbsz:4 blgp:4// 0000000037A0: D3AC7000 1803319C D3AD8C04 84122950
	buffer_load_dwordx4 v[128:131], v173, s[16:19], 0 offen offset:1024// 0000000037B0: E05C1400 800480AD
	v_mfma_scale_f32_16x16x128_f8f6f4 a[8:11], v[84:87], v[16:19], a[8:11], v156, v152 op_sel_hi:[0,0,0] cbsz:4 blgp:4// 0000000037B8: D3AC6800 1803319C D3AD8C08 84222154
	v_mfma_scale_f32_16x16x128_f8f6f4 a[12:15], v[84:87], v[20:23], a[12:15], v156, v152 op_sel_hi:[0,0,0] cbsz:4 blgp:4// 0000000037C8: D3AC7800 1803319C D3AD8C0C 84322954
	buffer_load_dwordx4 v[132:135], v174, s[16:19], 0 offen offset:1024// 0000000037D8: E05C1400 800484AE
	s_waitcnt lgkmcnt(0)                                       // 0000000037E0: BF8CC07F
	v_mfma_scale_f32_16x16x128_f8f6f4 a[80:83], v[72:75], v[24:27], a[80:83], v156, v153 op_sel_hi:[0,0,0] cbsz:4 blgp:4// 0000000037E4: D3AC6000 0003339C D3AD8C50 85423148
	v_mfma_scale_f32_16x16x128_f8f6f4 a[84:87], v[72:75], v[28:31], a[84:87], v156, v153 op_sel_hi:[0,0,0] cbsz:4 blgp:4// 0000000037F4: D3AC7000 0003339C D3AD8C54 85523948
	buffer_load_dword v159, v180, s[24:27], 0 offen            // 000000003804: E0501000 80069FB4
	v_mfma_scale_f32_16x16x128_f8f6f4 a[88:91], v[76:79], v[24:27], a[88:91], v156, v153 op_sel_hi:[0,0,0] cbsz:4 blgp:4// 00000000380C: D3AC6800 0003339C D3AD8C58 8562314C
	v_mfma_scale_f32_16x16x128_f8f6f4 a[92:95], v[76:79], v[28:31], a[92:95], v156, v153 op_sel_hi:[0,0,0] cbsz:4 blgp:4// 00000000381C: D3AC7800 0003339C D3AD8C5C 8572394C
	v_mfma_scale_f32_16x16x128_f8f6f4 a[80:83], v[80:83], v[32:35], a[80:83], v156, v153 op_sel_hi:[0,0,0] cbsz:4 blgp:4// 00000000382C: D3AC6000 1803339C D3AD8C50 85424150
	v_mfma_scale_f32_16x16x128_f8f6f4 a[84:87], v[80:83], v[36:39], a[84:87], v156, v153 op_sel_hi:[0,0,0] cbsz:4 blgp:4// 00000000383C: D3AC7000 1803339C D3AD8C54 85524950
	v_mfma_scale_f32_16x16x128_f8f6f4 a[88:91], v[84:87], v[32:35], a[88:91], v156, v153 op_sel_hi:[0,0,0] cbsz:4 blgp:4// 00000000384C: D3AC6800 1803339C D3AD8C58 85624154
	v_mfma_scale_f32_16x16x128_f8f6f4 a[92:95], v[84:87], v[36:39], a[92:95], v156, v153 op_sel_hi:[0,0,0] cbsz:4 blgp:4// 00000000385C: D3AC7800 1803339C D3AD8C5C 85724954
	s_waitcnt vmcnt(10)                                        // 00000000386C: BF8C0F7A
	v_mfma_scale_f32_16x16x128_f8f6f4 a[16:19], v[88:91], v[8:11], a[16:19], v157, v152 op_sel_hi:[0,0,0] cbsz:4 blgp:4// 000000003870: D3AC6000 0003319D D3AD8C10 84421158
	s_add_u32 s63, 0x100, s60                                  // 000000003880: 803F3CFF 00000100
	s_cmp_lt_u32 s63, s61                                      // 000000003888: BF0A3D3F
	v_mfma_scale_f32_16x16x128_f8f6f4 a[20:23], v[88:91], v[12:15], a[20:23], v157, v152 op_sel_hi:[0,0,0] cbsz:4 blgp:4// 00000000388C: D3AC7000 0003319D D3AD8C14 84521958
	s_cselect_b32 s67, s67, 0                                  // 00000000389C: 85438043
	buffer_load_dwordx4 v[136:139], v175, s[16:19], 0 offen    // 0000000038A0: E05C1000 800488AF
	v_mfma_scale_f32_16x16x128_f8f6f4 a[24:27], v[92:95], v[8:11], a[24:27], v157, v152 op_sel_hi:[0,0,0] cbsz:4 blgp:4// 0000000038A8: D3AC6800 0003319D D3AD8C18 8462115C
	s_cselect_b32 s69, s69, 0                                  // 0000000038B8: 85458045
	v_mfma_scale_f32_16x16x128_f8f6f4 a[28:31], v[92:95], v[12:15], a[28:31], v157, v152 op_sel_hi:[0,0,0] cbsz:4 blgp:4// 0000000038BC: D3AC7800 0003319D D3AD8C1C 8472195C
	buffer_load_dwordx4 v[140:143], v176, s[16:19], 0 offen    // 0000000038CC: E05C1000 80048CB0
	v_mfma_scale_f32_16x16x128_f8f6f4 a[16:19], v[96:99], v[16:19], a[16:19], v157, v152 op_sel_hi:[0,0,0] cbsz:4 blgp:4// 0000000038D4: D3AC6000 1803319D D3AD8C10 84422160
	v_mfma_scale_f32_16x16x128_f8f6f4 a[20:23], v[96:99], v[20:23], a[20:23], v157, v152 op_sel_hi:[0,0,0] cbsz:4 blgp:4// 0000000038E4: D3AC7000 1803319D D3AD8C14 84522960
	buffer_load_dwordx4 v[144:147], v175, s[16:19], 0 offen offset:1024// 0000000038F4: E05C1400 800490AF
	v_mfma_scale_f32_16x16x128_f8f6f4 a[24:27], v[100:103], v[16:19], a[24:27], v157, v152 op_sel_hi:[0,0,0] cbsz:4 blgp:4// 0000000038FC: D3AC6800 1803319D D3AD8C18 84622164
	v_mfma_scale_f32_16x16x128_f8f6f4 a[28:31], v[100:103], v[20:23], a[28:31], v157, v152 op_sel_hi:[0,0,0] cbsz:4 blgp:4// 00000000390C: D3AC7800 1803319D D3AD8C1C 84722964
	buffer_load_dwordx4 v[148:151], v176, s[16:19], 0 offen offset:1024// 00000000391C: E05C1400 800494B0
	v_mfma_scale_f32_16x16x128_f8f6f4 a[96:99], v[88:91], v[24:27], a[96:99], v157, v153 op_sel_hi:[0,0,0] cbsz:4 blgp:4// 000000003924: D3AC6000 0003339D D3AD8C60 85823158
	v_mfma_scale_f32_16x16x128_f8f6f4 a[100:103], v[88:91], v[28:31], a[100:103], v157, v153 op_sel_hi:[0,0,0] cbsz:4 blgp:4// 000000003934: D3AC7000 0003339D D3AD8C64 85923958
	buffer_load_dword v160, v181, s[24:27], 0 offen            // 000000003944: E0501000 8006A0B5
	v_mfma_scale_f32_16x16x128_f8f6f4 a[104:107], v[92:95], v[24:27], a[104:107], v157, v153 op_sel_hi:[0,0,0] cbsz:4 blgp:4// 00000000394C: D3AC6800 0003339D D3AD8C68 85A2315C
	s_add_u32 s16, s16, s67                                    // 00000000395C: 80104310
	s_addc_u32 s17, 0, s17                                     // 000000003960: 82111180
	v_mfma_scale_f32_16x16x128_f8f6f4 a[108:111], v[92:95], v[28:31], a[108:111], v157, v153 op_sel_hi:[0,0,0] cbsz:4 blgp:4// 000000003964: D3AC7800 0003339D D3AD8C6C 85B2395C
	s_sub_u32 s18, s18, s67                                    // 000000003974: 80924312
	s_add_u32 s24, s24, s69                                    // 000000003978: 80184518
	v_mfma_scale_f32_16x16x128_f8f6f4 a[96:99], v[96:99], v[32:35], a[96:99], v157, v153 op_sel_hi:[0,0,0] cbsz:4 blgp:4// 00000000397C: D3AC6000 1803339D D3AD8C60 85824160
	s_addc_u32 s25, 0, s25                                     // 00000000398C: 82191980
	s_sub_u32 s26, s26, s69                                    // 000000003990: 809A451A
	v_mfma_scale_f32_16x16x128_f8f6f4 a[100:103], v[96:99], v[36:39], a[100:103], v157, v153 op_sel_hi:[0,0,0] cbsz:4 blgp:4// 000000003994: D3AC7000 1803339D D3AD8C64 85924960
	s_add_u32 m0, 0x400, s65                                   // 0000000039A4: 807C41FF 00000400
	buffer_load_dword v165, s[20:23], 0 offen lds              // 0000000039AC: E0511000 800500A5
	v_mfma_scale_f32_16x16x128_f8f6f4 a[104:107], v[100:103], v[32:35], a[104:107], v157, v153 op_sel_hi:[0,0,0] cbsz:4 blgp:4// 0000000039B4: D3AC4800 1803339D D3AD8C68 85A24164
	v_mfma_scale_f32_16x16x128_f8f6f4 a[108:111], v[100:103], v[36:39], a[108:111], v157, v153 op_sel_hi:[0,0,0] cbsz:4 blgp:4// 0000000039C4: D3AC7800 1803339D D3AD8C6C 85B24964
	s_waitcnt vmcnt(11)                                        // 0000000039D4: BF8C0F7B
	v_mfma_scale_f32_16x16x128_f8f6f4 a[32:35], v[104:107], v[8:11], a[32:35], v158, v152 op_sel_hi:[0,0,0] cbsz:4 blgp:4// 0000000039D8: D3AC6000 0003319E D3AD8C20 84821168
	v_mfma_scale_f32_16x16x128_f8f6f4 a[36:39], v[104:107], v[12:15], a[36:39], v158, v152 op_sel_hi:[0,0,0] cbsz:4 blgp:4// 0000000039E8: D3AC7000 0003319E D3AD8C24 84921968
	s_add_u32 m0, 0x2100, s64                                  // 0000000039F8: 807C40FF 00002100
	buffer_load_dwordx4 v161, s[12:15], 0 offen lds            // 000000003A00: E05D1000 800300A1
	v_mfma_scale_f32_16x16x128_f8f6f4 a[40:43], v[108:111], v[8:11], a[40:43], v158, v152 op_sel_hi:[0,0,0] cbsz:4 blgp:4// 000000003A08: D3AC6800 0003319E D3AD8C28 84A2116C
	v_mfma_scale_f32_16x16x128_f8f6f4 a[44:47], v[108:111], v[12:15], a[44:47], v158, v152 op_sel_hi:[0,0,0] cbsz:4 blgp:4// 000000003A18: D3AC7800 0003319E D3AD8C2C 84B2196C
	s_add_u32 m0, 0x3180, s64                                  // 000000003A28: 807C40FF 00003180
	buffer_load_dwordx4 v162, s[12:15], 0 offen lds            // 000000003A30: E05D1000 800300A2
	v_mfma_scale_f32_16x16x128_f8f6f4 a[32:35], v[112:115], v[16:19], a[32:35], v158, v152 op_sel_hi:[0,0,0] cbsz:4 blgp:4// 000000003A38: D3AC6000 1803319E D3AD8C20 84822170
	s_add_u32 s62, 0x200, s60                                  // 000000003A48: 803E3CFF 00000200
	s_cmp_lt_u32 s62, s61                                      // 000000003A50: BF0A3D3E
	v_mfma_scale_f32_16x16x128_f8f6f4 a[36:39], v[112:115], v[20:23], a[36:39], v158, v152 op_sel_hi:[0,0,0] cbsz:4 blgp:4// 000000003A54: D3AC7000 1803319E D3AD8C24 84922970
	s_cselect_b32 s66, s66, 0                                  // 000000003A64: 85428042
	buffer_load_dwordx4 v[72:75], v167, s[16:19], 0 offen      // 000000003A68: E05C1000 800448A7
	v_mfma_scale_f32_16x16x128_f8f6f4 a[40:43], v[116:119], v[16:19], a[40:43], v158, v152 op_sel_hi:[0,0,0] cbsz:4 blgp:4// 000000003A70: D3AC6800 1803319E D3AD8C28 84A22174
	s_cselect_b32 s68, s68, 0                                  // 000000003A80: 85448044
	s_add_u32 s12, s12, s66                                    // 000000003A84: 800C420C
	v_mfma_scale_f32_16x16x128_f8f6f4 a[44:47], v[116:119], v[20:23], a[44:47], v158, v152 op_sel_hi:[0,0,0] cbsz:4 blgp:4// 000000003A88: D3AC7800 1803319E D3AD8C2C 84B22974
	s_addc_u32 s13, 0, s13                                     // 000000003A98: 820D0D80
	buffer_load_dwordx4 v[76:79], v168, s[16:19], 0 offen      // 000000003A9C: E05C1000 80044CA8
	v_mfma_scale_f32_16x16x128_f8f6f4 a[112:115], v[104:107], v[24:27], a[112:115], v158, v153 op_sel_hi:[0,0,0] cbsz:4 blgp:4// 000000003AA4: D3AC6000 0003339E D3AD8C70 85C23168
	s_sub_u32 s14, s14, s66                                    // 000000003AB4: 808E420E
	s_add_u32 s20, s20, s68                                    // 000000003AB8: 80144414
	v_mfma_scale_f32_16x16x128_f8f6f4 a[116:119], v[104:107], v[28:31], a[116:119], v158, v153 op_sel_hi:[0,0,0] cbsz:4 blgp:4// 000000003ABC: D3AC7000 0003339E D3AD8C74 85D23968
	s_addc_u32 s21, 0, s21                                     // 000000003ACC: 82151580
	buffer_load_dwordx4 v[80:83], v167, s[16:19], 0 offen offset:1024// 000000003AD0: E05C1400 800450A7
	v_mfma_scale_f32_16x16x128_f8f6f4 a[120:123], v[108:111], v[24:27], a[120:123], v158, v153 op_sel_hi:[0,0,0] cbsz:4 blgp:4// 000000003AD8: D3AC6800 0003339E D3AD8C78 85E2316C
	s_sub_u32 s22, s22, s68                                    // 000000003AE8: 80964416
	v_mfma_scale_f32_16x16x128_f8f6f4 a[124:127], v[108:111], v[28:31], a[124:127], v158, v153 op_sel_hi:[0,0,0] cbsz:4 blgp:4// 000000003AEC: D3AC7800 0003339E D3AD8C7C 85F2396C
	buffer_load_dwordx4 v[84:87], v168, s[16:19], 0 offen offset:1024// 000000003AFC: E05C1400 800454A8
	v_mfma_scale_f32_16x16x128_f8f6f4 a[112:115], v[112:115], v[32:35], a[112:115], v158, v153 op_sel_hi:[0,0,0] cbsz:4 blgp:4// 000000003B04: D3AC6000 1803339E D3AD8C70 85C24170
	v_mfma_scale_f32_16x16x128_f8f6f4 a[116:119], v[112:115], v[36:39], a[116:119], v158, v153 op_sel_hi:[0,0,0] cbsz:4 blgp:4// 000000003B14: D3AC7000 1803339E D3AD8C74 85D24970
	buffer_load_dword v156, v177, s[24:27], 0 offen            // 000000003B24: E0501000 80069CB1
	v_mfma_scale_f32_16x16x128_f8f6f4 a[120:123], v[116:119], v[32:35], a[120:123], v158, v153 op_sel_hi:[0,0,0] cbsz:4 blgp:4// 000000003B2C: D3AC6800 1803339E D3AD8C78 85E24174
	v_mfma_scale_f32_16x16x128_f8f6f4 a[124:127], v[116:119], v[36:39], a[124:127], v158, v153 op_sel_hi:[0,0,0] cbsz:4 blgp:4// 000000003B3C: D3AC7800 1803339E D3AD8C7C 85F24974
	s_waitcnt vmcnt(13)                                        // 000000003B4C: BF8C0F7D
	v_mfma_scale_f32_16x16x128_f8f6f4 a[48:51], v[120:123], v[8:11], a[48:51], v159, v152 op_sel_hi:[0,0,0] cbsz:4 blgp:4// 000000003B50: D3AC6000 0003319F D3AD8C30 84C21178
	v_mfma_scale_f32_16x16x128_f8f6f4 a[52:55], v[120:123], v[12:15], a[52:55], v159, v152 op_sel_hi:[0,0,0] cbsz:4 blgp:4// 000000003B60: D3AC7000 0003319F D3AD8C34 84D21978
	buffer_load_dwordx4 v[88:91], v169, s[16:19], 0 offen      // 000000003B70: E05C1000 800458A9
	v_mfma_scale_f32_16x16x128_f8f6f4 a[56:59], v[124:127], v[8:11], a[56:59], v159, v152 op_sel_hi:[0,0,0] cbsz:4 blgp:4// 000000003B78: D3AC6800 0003319F D3AD8C38 84E2117C
	v_mfma_scale_f32_16x16x128_f8f6f4 a[60:63], v[124:127], v[12:15], a[60:63], v159, v152 op_sel_hi:[0,0,0] cbsz:4 blgp:4// 000000003B88: D3AC7800 0003319F D3AD8C3C 84F2197C
	buffer_load_dwordx4 v[92:95], v170, s[16:19], 0 offen      // 000000003B98: E05C1000 80045CAA
	v_mfma_scale_f32_16x16x128_f8f6f4 a[48:51], v[128:131], v[16:19], a[48:51], v159, v152 op_sel_hi:[0,0,0] cbsz:4 blgp:4// 000000003BA0: D3AC6000 1803319F D3AD8C30 84C22180
	v_mfma_scale_f32_16x16x128_f8f6f4 a[52:55], v[128:131], v[20:23], a[52:55], v159, v152 op_sel_hi:[0,0,0] cbsz:4 blgp:4// 000000003BB0: D3AC5000 1803319F D3AD8C34 84D22980
	buffer_load_dwordx4 v[96:99], v169, s[16:19], 0 offen offset:1024// 000000003BC0: E05C1400 800460A9
	v_mfma_scale_f32_16x16x128_f8f6f4 a[56:59], v[132:135], v[16:19], a[56:59], v159, v152 op_sel_hi:[0,0,0] cbsz:4 blgp:4// 000000003BC8: D3AC6800 1803319F D3AD8C38 84E22184
	v_mfma_scale_f32_16x16x128_f8f6f4 a[60:63], v[132:135], v[20:23], a[60:63], v159, v152 op_sel_hi:[0,0,0] cbsz:4 blgp:4// 000000003BD8: D3AC7800 1803319F D3AD8C3C 84F22984
	buffer_load_dwordx4 v[100:103], v170, s[16:19], 0 offen offset:1024// 000000003BE8: E05C1400 800464AA
	v_mfma_scale_f32_16x16x128_f8f6f4 a[128:131], v[120:123], v[24:27], a[128:131], v159, v153 op_sel_hi:[0,0,0] cbsz:4 blgp:4// 000000003BF0: D3AC6000 0003339F D3AD8C80 86023178
	v_mfma_scale_f32_16x16x128_f8f6f4 a[132:135], v[120:123], v[28:31], a[132:135], v159, v153 op_sel_hi:[0,0,0] cbsz:4 blgp:4// 000000003C00: D3AC7000 0003339F D3AD8C84 86123978
	buffer_load_dword v157, v178, s[24:27], 0 offen            // 000000003C10: E0501000 80069DB2
	v_mfma_scale_f32_16x16x128_f8f6f4 a[136:139], v[124:127], v[24:27], a[136:139], v159, v153 op_sel_hi:[0,0,0] cbsz:4 blgp:4// 000000003C18: D3AC6800 0003339F D3AD8C88 8622317C
	v_mfma_scale_f32_16x16x128_f8f6f4 a[140:143], v[124:127], v[28:31], a[140:143], v159, v153 op_sel_hi:[0,0,0] cbsz:4 blgp:4// 000000003C28: D3AC7800 0003339F D3AD8C8C 8632397C
	v_mfma_scale_f32_16x16x128_f8f6f4 a[128:131], v[128:131], v[32:35], a[128:131], v159, v153 op_sel_hi:[0,0,0] cbsz:4 blgp:4// 000000003C38: D3AC6000 1803339F D3AD8C80 86024180
	v_mfma_scale_f32_16x16x128_f8f6f4 a[132:135], v[128:131], v[36:39], a[132:135], v159, v153 op_sel_hi:[0,0,0] cbsz:4 blgp:4// 000000003C48: D3AC7000 1803339F D3AD8C84 86124980
	v_mfma_scale_f32_16x16x128_f8f6f4 a[136:139], v[132:135], v[32:35], a[136:139], v159, v153 op_sel_hi:[0,0,0] cbsz:4 blgp:4// 000000003C58: D3AC6800 1803339F D3AD8C88 86224184
	v_mfma_scale_f32_16x16x128_f8f6f4 a[140:143], v[132:135], v[36:39], a[140:143], v159, v153 op_sel_hi:[0,0,0] cbsz:4 blgp:4// 000000003C68: D3AC7800 1803339F D3AD8C8C 86324984
	s_waitcnt vmcnt(10)                                        // 000000003C78: BF8C0F7A
	s_barrier                                                  // 000000003C7C: BF8A0000
	v_mfma_scale_f32_16x16x128_f8f6f4 a[64:67], v[136:139], v[8:11], a[64:67], v160, v152 op_sel_hi:[0,0,0] cbsz:4 blgp:4// 000000003C80: D3AC2000 000331A0 D3AD8C40 85021188
	s_addk_i32 s60, 0x100                                      // 000000003C90: B73C0100
	ds_read_b128 v[40:43], v164                                // 000000003C94: D9FE0000 280000A4
	v_mfma_scale_f32_16x16x128_f8f6f4 a[68:71], v[136:139], v[12:15], a[68:71], v160, v152 op_sel_hi:[0,0,0] cbsz:4 blgp:4// 000000003C9C: D3AC7000 000331A0 D3AD8C44 85121988
	s_cmp_lt_i32 s60, s61                                      // 000000003CAC: BF043D3C
	buffer_load_dwordx4 v[104:107], v171, s[16:19], 0 offen    // 000000003CB0: E05C1000 800468AB
	v_mfma_scale_f32_16x16x128_f8f6f4 a[72:75], v[140:143], v[8:11], a[72:75], v160, v152 op_sel_hi:[0,0,0] cbsz:4 blgp:4// 000000003CB8: D3AC6800 000331A0 D3AD8C48 8522118C
	ds_read_b128 v[48:51], v164 offset:64                      // 000000003CC8: D9FE0040 300000A4
	v_mfma_scale_f32_16x16x128_f8f6f4 a[76:79], v[140:143], v[12:15], a[76:79], v160, v152 op_sel_hi:[0,0,0] cbsz:4 blgp:4// 000000003CD0: D3AC7800 000331A0 D3AD8C4C 8532198C
	buffer_load_dwordx4 v[108:111], v172, s[16:19], 0 offen    // 000000003CE0: E05C1000 80046CAC
	v_mfma_scale_f32_16x16x128_f8f6f4 a[64:67], v[144:147], v[16:19], a[64:67], v160, v152 op_sel_hi:[0,0,0] cbsz:4 blgp:4// 000000003CE8: D3AC4000 180331A0 D3AD8C40 85022190
	ds_read_b128 v[44:47], v164 offset:512                     // 000000003CF8: D9FE0200 2C0000A4
	v_mfma_scale_f32_16x16x128_f8f6f4 a[68:71], v[144:147], v[20:23], a[68:71], v160, v152 op_sel_hi:[0,0,0] cbsz:4 blgp:4// 000000003D00: D3AC7000 180331A0 D3AD8C44 85122990
	buffer_load_dwordx4 v[112:115], v171, s[16:19], 0 offen offset:1024// 000000003D10: E05C1400 800470AB
	v_mfma_scale_f32_16x16x128_f8f6f4 a[72:75], v[148:151], v[16:19], a[72:75], v160, v152 op_sel_hi:[0,0,0] cbsz:4 blgp:4// 000000003D18: D3AC6800 180331A0 D3AD8C48 85222194
	ds_read_b128 v[52:55], v164 offset:576                     // 000000003D28: D9FE0240 340000A4
	v_mfma_scale_f32_16x16x128_f8f6f4 a[76:79], v[148:151], v[20:23], a[76:79], v160, v152 op_sel_hi:[0,0,0] cbsz:4 blgp:4// 000000003D30: D3AC7800 180331A0 D3AD8C4C 85322994
	buffer_load_dwordx4 v[116:119], v172, s[16:19], 0 offen offset:1024// 000000003D40: E05C1400 800474AC
	ds_read_b32 v154, v166 offset:1024                         // 000000003D48: D86C0400 9A0000A6
	v_mfma_scale_f32_16x16x128_f8f6f4 a[144:147], v[136:139], v[24:27], a[144:147], v160, v153 op_sel_hi:[0,0,0] cbsz:4 blgp:4// 000000003D50: D3AC6000 000333A0 D3AD8C90 86423188
	ds_read_b128 v[56:59], v164 offset:4224                    // 000000003D60: D9FE1080 380000A4
	v_mfma_scale_f32_16x16x128_f8f6f4 a[148:151], v[136:139], v[28:31], a[148:151], v160, v153 op_sel_hi:[0,0,0] cbsz:4 blgp:4// 000000003D68: D3AC7000 000333A0 D3AD8C94 86523988
	buffer_load_dword v158, v179, s[24:27], 0 offen            // 000000003D78: E0501000 80069EB3
	v_mfma_scale_f32_16x16x128_f8f6f4 a[152:155], v[140:143], v[24:27], a[152:155], v160, v153 op_sel_hi:[0,0,0] cbsz:4 blgp:4// 000000003D80: D3AC6800 000333A0 D3AD8C98 8662318C
	ds_read_b128 v[64:67], v164 offset:4288                    // 000000003D90: D9FE10C0 400000A4
	v_mfma_scale_f32_16x16x128_f8f6f4 a[156:159], v[140:143], v[28:31], a[156:159], v160, v153 op_sel_hi:[0,0,0] cbsz:4 blgp:4// 000000003D98: D3AC7800 000333A0 D3AD8C9C 8672398C
	v_mfma_scale_f32_16x16x128_f8f6f4 a[144:147], v[144:147], v[32:35], a[144:147], v160, v153 op_sel_hi:[0,0,0] cbsz:4 blgp:4// 000000003DA8: D3AC6000 180333A0 D3AD8C90 86424190
	ds_read_b128 v[60:63], v164 offset:4736                    // 000000003DB8: D9FE1280 3C0000A4
	v_mfma_scale_f32_16x16x128_f8f6f4 a[148:151], v[144:147], v[36:39], a[148:151], v160, v153 op_sel_hi:[0,0,0] cbsz:4 blgp:4// 000000003DC0: D3AC7000 180333A0 D3AD8C94 86524990
	v_mfma_scale_f32_16x16x128_f8f6f4 a[152:155], v[148:151], v[32:35], a[152:155], v160, v153 op_sel_hi:[0,0,0] cbsz:4 blgp:4// 000000003DD0: D3AC6800 180333A0 D3AD8C98 86624194
	ds_read_b128 v[68:71], v164 offset:4800                    // 000000003DE0: D9FE12C0 440000A4
	v_mfma_scale_f32_16x16x128_f8f6f4 a[156:159], v[148:151], v[36:39], a[156:159], v160, v153 op_sel_hi:[0,0,0] cbsz:4 blgp:4// 000000003DE8: D3AC7800 180333A0 D3AD8C9C 86724994
	ds_read_b32 v155, v166 offset:1280                         // 000000003DF8: D86C0500 9B0000A6
	s_cbranch_scc0 label_0995                                  // 000000003E00: BF840514
	s_waitcnt vmcnt(10) lgkmcnt(5)                             // 000000003E04: BF8C057A
	v_mfma_scale_f32_16x16x128_f8f6f4 a[0:3], v[72:75], v[40:43], a[0:3], v156, v154 op_sel_hi:[0,0,0] cbsz:4 blgp:4// 000000003E08: D3AC6000 0003359C D3AD8C00 84025148
	v_mfma_scale_f32_16x16x128_f8f6f4 a[4:7], v[72:75], v[44:47], a[4:7], v156, v154 op_sel_hi:[0,0,0] cbsz:4 blgp:4// 000000003E18: D3AC5000 0003359C D3AD8C04 84125948
	buffer_load_dwordx4 v[120:123], v173, s[16:19], 0 offen    // 000000003E28: E05C1000 800478AD
	v_mfma_scale_f32_16x16x128_f8f6f4 a[8:11], v[76:79], v[40:43], a[8:11], v156, v154 op_sel_hi:[0,0,0] cbsz:4 blgp:4// 000000003E30: D3AC6800 0003359C D3AD8C08 8422514C
	v_mfma_scale_f32_16x16x128_f8f6f4 a[12:15], v[76:79], v[44:47], a[12:15], v156, v154 op_sel_hi:[0,0,0] cbsz:4 blgp:4// 000000003E40: D3AC5800 0003359C D3AD8C0C 8432594C
	buffer_load_dwordx4 v[124:127], v174, s[16:19], 0 offen    // 000000003E50: E05C1000 80047CAE
	v_mfma_scale_f32_16x16x128_f8f6f4 a[0:3], v[80:83], v[48:51], a[0:3], v156, v154 op_sel_hi:[0,0,0] cbsz:4 blgp:4// 000000003E58: D3AC6000 1803359C D3AD8C00 84026150
	v_mfma_scale_f32_16x16x128_f8f6f4 a[4:7], v[80:83], v[52:55], a[4:7], v156, v154 op_sel_hi:[0,0,0] cbsz:4 blgp:4// 000000003E68: D3AC7000 1803359C D3AD8C04 84126950
	buffer_load_dwordx4 v[128:131], v173, s[16:19], 0 offen offset:1024// 000000003E78: E05C1400 800480AD
	v_mfma_scale_f32_16x16x128_f8f6f4 a[8:11], v[84:87], v[48:51], a[8:11], v156, v154 op_sel_hi:[0,0,0] cbsz:4 blgp:4// 000000003E80: D3AC2800 1803359C D3AD8C08 84226154
	v_mfma_scale_f32_16x16x128_f8f6f4 a[12:15], v[84:87], v[52:55], a[12:15], v156, v154 op_sel_hi:[0,0,0] cbsz:4 blgp:4// 000000003E90: D3AC7800 1803359C D3AD8C0C 84326954
	buffer_load_dwordx4 v[132:135], v174, s[16:19], 0 offen offset:1024// 000000003EA0: E05C1400 800484AE
	s_waitcnt lgkmcnt(0)                                       // 000000003EA8: BF8CC07F
	v_mfma_scale_f32_16x16x128_f8f6f4 a[80:83], v[72:75], v[56:59], a[80:83], v156, v155 op_sel_hi:[0,0,0] cbsz:4 blgp:4// 000000003EAC: D3AC2000 0003379C D3AD8C50 85427148
	v_mfma_scale_f32_16x16x128_f8f6f4 a[84:87], v[72:75], v[60:63], a[84:87], v156, v155 op_sel_hi:[0,0,0] cbsz:4 blgp:4// 000000003EBC: D3AC7000 0003379C D3AD8C54 85527948
	buffer_load_dword v159, v180, s[24:27], 0 offen            // 000000003ECC: E0501000 80069FB4
	v_mfma_scale_f32_16x16x128_f8f6f4 a[88:91], v[76:79], v[56:59], a[88:91], v156, v155 op_sel_hi:[0,0,0] cbsz:4 blgp:4// 000000003ED4: D3AC2800 0003379C D3AD8C58 8562714C
	v_mfma_scale_f32_16x16x128_f8f6f4 a[92:95], v[76:79], v[60:63], a[92:95], v156, v155 op_sel_hi:[0,0,0] cbsz:4 blgp:4// 000000003EE4: D3AC7800 0003379C D3AD8C5C 8572794C
	v_mfma_scale_f32_16x16x128_f8f6f4 a[80:83], v[80:83], v[64:67], a[80:83], v156, v155 op_sel_hi:[0,0,0] cbsz:4 blgp:4// 000000003EF4: D3AC6000 1803379C D3AD8C50 85428150
	v_mfma_scale_f32_16x16x128_f8f6f4 a[84:87], v[80:83], v[68:71], a[84:87], v156, v155 op_sel_hi:[0,0,0] cbsz:4 blgp:4// 000000003F04: D3AC7000 1803379C D3AD8C54 85528950
	v_mfma_scale_f32_16x16x128_f8f6f4 a[88:91], v[84:87], v[64:67], a[88:91], v156, v155 op_sel_hi:[0,0,0] cbsz:4 blgp:4// 000000003F14: D3AC6800 1803379C D3AD8C58 85628154
	v_mfma_scale_f32_16x16x128_f8f6f4 a[92:95], v[84:87], v[68:71], a[92:95], v156, v155 op_sel_hi:[0,0,0] cbsz:4 blgp:4// 000000003F24: D3AC5800 1803379C D3AD8C5C 85728954
	s_waitcnt vmcnt(10)                                        // 000000003F34: BF8C0F7A
	v_mfma_scale_f32_16x16x128_f8f6f4 a[16:19], v[88:91], v[40:43], a[16:19], v157, v154 op_sel_hi:[0,0,0] cbsz:4 blgp:4// 000000003F38: D3AC6000 0003359D D3AD8C10 84425158
	s_add_u32 s63, 0x100, s60                                  // 000000003F48: 803F3CFF 00000100
	s_cmp_lt_u32 s63, s61                                      // 000000003F50: BF0A3D3F
	v_mfma_scale_f32_16x16x128_f8f6f4 a[20:23], v[88:91], v[44:47], a[20:23], v157, v154 op_sel_hi:[0,0,0] cbsz:4 blgp:4// 000000003F54: D3AC7000 0003359D D3AD8C14 84525958
	s_cselect_b32 s67, s67, 0                                  // 000000003F64: 85438043
	buffer_load_dwordx4 v[136:139], v175, s[16:19], 0 offen    // 000000003F68: E05C1000 800488AF
	v_mfma_scale_f32_16x16x128_f8f6f4 a[24:27], v[92:95], v[40:43], a[24:27], v157, v154 op_sel_hi:[0,0,0] cbsz:4 blgp:4// 000000003F70: D3AC6800 0003359D D3AD8C18 8462515C
	s_cselect_b32 s69, s69, 0                                  // 000000003F80: 85458045
	v_mfma_scale_f32_16x16x128_f8f6f4 a[28:31], v[92:95], v[44:47], a[28:31], v157, v154 op_sel_hi:[0,0,0] cbsz:4 blgp:4// 000000003F84: D3AC7800 0003359D D3AD8C1C 8472595C
	buffer_load_dwordx4 v[140:143], v176, s[16:19], 0 offen    // 000000003F94: E05C1000 80048CB0
	v_mfma_scale_f32_16x16x128_f8f6f4 a[16:19], v[96:99], v[48:51], a[16:19], v157, v154 op_sel_hi:[0,0,0] cbsz:4 blgp:4// 000000003F9C: D3AC6000 1803359D D3AD8C10 84426160
	v_mfma_scale_f32_16x16x128_f8f6f4 a[20:23], v[96:99], v[52:55], a[20:23], v157, v154 op_sel_hi:[0,0,0] cbsz:4 blgp:4// 000000003FAC: D3AC7000 1803359D D3AD8C14 84526960
	buffer_load_dwordx4 v[144:147], v175, s[16:19], 0 offen offset:1024// 000000003FBC: E05C1400 800490AF
	v_mfma_scale_f32_16x16x128_f8f6f4 a[24:27], v[100:103], v[48:51], a[24:27], v157, v154 op_sel_hi:[0,0,0] cbsz:4 blgp:4// 000000003FC4: D3AC6800 1803359D D3AD8C18 84626164
	v_mfma_scale_f32_16x16x128_f8f6f4 a[28:31], v[100:103], v[52:55], a[28:31], v157, v154 op_sel_hi:[0,0,0] cbsz:4 blgp:4// 000000003FD4: D3AC7800 1803359D D3AD8C1C 84726964
	buffer_load_dwordx4 v[148:151], v176, s[16:19], 0 offen offset:1024// 000000003FE4: E05C1400 800494B0
	v_mfma_scale_f32_16x16x128_f8f6f4 a[96:99], v[88:91], v[56:59], a[96:99], v157, v155 op_sel_hi:[0,0,0] cbsz:4 blgp:4// 000000003FEC: D3AC6000 0003379D D3AD8C60 85827158
	v_mfma_scale_f32_16x16x128_f8f6f4 a[100:103], v[88:91], v[60:63], a[100:103], v157, v155 op_sel_hi:[0,0,0] cbsz:4 blgp:4// 000000003FFC: D3AC7000 0003379D D3AD8C64 85927958
	buffer_load_dword v160, v181, s[24:27], 0 offen            // 00000000400C: E0501000 8006A0B5
	v_mfma_scale_f32_16x16x128_f8f6f4 a[104:107], v[92:95], v[56:59], a[104:107], v157, v155 op_sel_hi:[0,0,0] cbsz:4 blgp:4// 000000004014: D3AC6800 0003379D D3AD8C68 85A2715C
	s_add_u32 s16, s16, s67                                    // 000000004024: 80104310
	s_addc_u32 s17, 0, s17                                     // 000000004028: 82111180
	v_mfma_scale_f32_16x16x128_f8f6f4 a[108:111], v[92:95], v[60:63], a[108:111], v157, v155 op_sel_hi:[0,0,0] cbsz:4 blgp:4// 00000000402C: D3AC5800 0003379D D3AD8C6C 85B2795C
	s_sub_u32 s18, s18, s67                                    // 00000000403C: 80924312
	s_add_u32 s24, s24, s69                                    // 000000004040: 80184518
	v_mfma_scale_f32_16x16x128_f8f6f4 a[96:99], v[96:99], v[64:67], a[96:99], v157, v155 op_sel_hi:[0,0,0] cbsz:4 blgp:4// 000000004044: D3AC6000 1803379D D3AD8C60 85828160
	s_addc_u32 s25, 0, s25                                     // 000000004054: 82191980
	s_sub_u32 s26, s26, s69                                    // 000000004058: 809A451A
	v_mfma_scale_f32_16x16x128_f8f6f4 a[100:103], v[96:99], v[68:71], a[100:103], v157, v155 op_sel_hi:[0,0,0] cbsz:4 blgp:4// 00000000405C: D3AC7000 1803379D D3AD8C64 85928960
	s_add_u32 m0, 0, s65                                       // 00000000406C: 807C4180
	buffer_load_dword v165, s[20:23], 0 offen lds              // 000000004070: E0511000 800500A5
	v_mfma_scale_f32_16x16x128_f8f6f4 a[104:107], v[100:103], v[64:67], a[104:107], v157, v155 op_sel_hi:[0,0,0] cbsz:4 blgp:4// 000000004078: D3AC6800 1803379D D3AD8C68 85A28164
	v_mfma_scale_f32_16x16x128_f8f6f4 a[108:111], v[100:103], v[68:71], a[108:111], v157, v155 op_sel_hi:[0,0,0] cbsz:4 blgp:4// 000000004088: D3AC7800 1803379D D3AD8C6C 85B28964
	s_waitcnt vmcnt(11)                                        // 000000004098: BF8C0F7B
	v_mfma_scale_f32_16x16x128_f8f6f4 a[32:35], v[104:107], v[40:43], a[32:35], v158, v154 op_sel_hi:[0,0,0] cbsz:4 blgp:4// 00000000409C: D3AC6000 0003359E D3AD8C20 84825168
	v_mfma_scale_f32_16x16x128_f8f6f4 a[36:39], v[104:107], v[44:47], a[36:39], v158, v154 op_sel_hi:[0,0,0] cbsz:4 blgp:4// 0000000040AC: D3AC7000 0003359E D3AD8C24 84925968
	s_add_u32 m0, 0, s64                                       // 0000000040BC: 807C4080
	buffer_load_dwordx4 v161, s[12:15], 0 offen lds            // 0000000040C0: E05D1000 800300A1
	v_mfma_scale_f32_16x16x128_f8f6f4 a[40:43], v[108:111], v[40:43], a[40:43], v158, v154 op_sel_hi:[0,0,0] cbsz:4 blgp:4// 0000000040C8: D3AC6800 0003359E D3AD8C28 84A2516C
	v_mfma_scale_f32_16x16x128_f8f6f4 a[44:47], v[108:111], v[44:47], a[44:47], v158, v154 op_sel_hi:[0,0,0] cbsz:4 blgp:4// 0000000040D8: D3AC7800 0003359E D3AD8C2C 84B2596C
	s_add_u32 m0, 0x1080, s64                                  // 0000000040E8: 807C40FF 00001080
	buffer_load_dwordx4 v162, s[12:15], 0 offen lds            // 0000000040F0: E05D1000 800300A2
	v_mfma_scale_f32_16x16x128_f8f6f4 a[32:35], v[112:115], v[48:51], a[32:35], v158, v154 op_sel_hi:[0,0,0] cbsz:4 blgp:4// 0000000040F8: D3AC6000 1803359E D3AD8C20 84826170
	s_add_u32 s62, 0x200, s60                                  // 000000004108: 803E3CFF 00000200
	s_cmp_lt_u32 s62, s61                                      // 000000004110: BF0A3D3E
	v_mfma_scale_f32_16x16x128_f8f6f4 a[36:39], v[112:115], v[52:55], a[36:39], v158, v154 op_sel_hi:[0,0,0] cbsz:4 blgp:4// 000000004114: D3AC7000 1803359E D3AD8C24 84926970
	s_cselect_b32 s66, s66, 0                                  // 000000004124: 85428042
	buffer_load_dwordx4 v[72:75], v167, s[16:19], 0 offen      // 000000004128: E05C1000 800448A7
	v_mfma_scale_f32_16x16x128_f8f6f4 a[40:43], v[116:119], v[48:51], a[40:43], v158, v154 op_sel_hi:[0,0,0] cbsz:4 blgp:4// 000000004130: D3AC6800 1803359E D3AD8C28 84A26174
	s_cselect_b32 s68, s68, 0                                  // 000000004140: 85448044
	s_add_u32 s12, s12, s66                                    // 000000004144: 800C420C
	v_mfma_scale_f32_16x16x128_f8f6f4 a[44:47], v[116:119], v[52:55], a[44:47], v158, v154 op_sel_hi:[0,0,0] cbsz:4 blgp:4// 000000004148: D3AC7800 1803359E D3AD8C2C 84B26974
	s_addc_u32 s13, 0, s13                                     // 000000004158: 820D0D80
	buffer_load_dwordx4 v[76:79], v168, s[16:19], 0 offen      // 00000000415C: E05C1000 80044CA8
	v_mfma_scale_f32_16x16x128_f8f6f4 a[112:115], v[104:107], v[56:59], a[112:115], v158, v155 op_sel_hi:[0,0,0] cbsz:4 blgp:4// 000000004164: D3AC6000 0003379E D3AD8C70 85C27168
	s_sub_u32 s14, s14, s66                                    // 000000004174: 808E420E
	s_add_u32 s20, s20, s68                                    // 000000004178: 80144414
	v_mfma_scale_f32_16x16x128_f8f6f4 a[116:119], v[104:107], v[60:63], a[116:119], v158, v155 op_sel_hi:[0,0,0] cbsz:4 blgp:4// 00000000417C: D3AC7000 0003379E D3AD8C74 85D27968
	s_addc_u32 s21, 0, s21                                     // 00000000418C: 82151580
	buffer_load_dwordx4 v[80:83], v167, s[16:19], 0 offen offset:1024// 000000004190: E05C1400 800450A7
	v_mfma_scale_f32_16x16x128_f8f6f4 a[120:123], v[108:111], v[56:59], a[120:123], v158, v155 op_sel_hi:[0,0,0] cbsz:4 blgp:4// 000000004198: D3AC6800 0003379E D3AD8C78 85E2716C
	s_sub_u32 s22, s22, s68                                    // 0000000041A8: 80964416
	v_mfma_scale_f32_16x16x128_f8f6f4 a[124:127], v[108:111], v[60:63], a[124:127], v158, v155 op_sel_hi:[0,0,0] cbsz:4 blgp:4// 0000000041AC: D3AC7800 0003379E D3AD8C7C 85F2796C
	buffer_load_dwordx4 v[84:87], v168, s[16:19], 0 offen offset:1024// 0000000041BC: E05C1400 800454A8
	v_mfma_scale_f32_16x16x128_f8f6f4 a[112:115], v[112:115], v[64:67], a[112:115], v158, v155 op_sel_hi:[0,0,0] cbsz:4 blgp:4// 0000000041C4: D3AC6000 1803379E D3AD8C70 85C28170
	v_mfma_scale_f32_16x16x128_f8f6f4 a[116:119], v[112:115], v[68:71], a[116:119], v158, v155 op_sel_hi:[0,0,0] cbsz:4 blgp:4// 0000000041D4: D3AC7000 1803379E D3AD8C74 85D28970
	buffer_load_dword v156, v177, s[24:27], 0 offen            // 0000000041E4: E0501000 80069CB1
	v_mfma_scale_f32_16x16x128_f8f6f4 a[120:123], v[116:119], v[64:67], a[120:123], v158, v155 op_sel_hi:[0,0,0] cbsz:4 blgp:4// 0000000041EC: D3AC6800 1803379E D3AD8C78 85E28174
	v_mfma_scale_f32_16x16x128_f8f6f4 a[124:127], v[116:119], v[68:71], a[124:127], v158, v155 op_sel_hi:[0,0,0] cbsz:4 blgp:4// 0000000041FC: D3AC7800 1803379E D3AD8C7C 85F28974
	s_waitcnt vmcnt(13)                                        // 00000000420C: BF8C0F7D
	v_mfma_scale_f32_16x16x128_f8f6f4 a[48:51], v[120:123], v[40:43], a[48:51], v159, v154 op_sel_hi:[0,0,0] cbsz:4 blgp:4// 000000004210: D3AC6000 0003359F D3AD8C30 84C25178
	v_mfma_scale_f32_16x16x128_f8f6f4 a[52:55], v[120:123], v[44:47], a[52:55], v159, v154 op_sel_hi:[0,0,0] cbsz:4 blgp:4// 000000004220: D3AC7000 0003359F D3AD8C34 84D25978
	buffer_load_dwordx4 v[88:91], v169, s[16:19], 0 offen      // 000000004230: E05C1000 800458A9
	v_mfma_scale_f32_16x16x128_f8f6f4 a[56:59], v[124:127], v[40:43], a[56:59], v159, v154 op_sel_hi:[0,0,0] cbsz:4 blgp:4// 000000004238: D3AC6800 0003359F D3AD8C38 84E2517C
	v_mfma_scale_f32_16x16x128_f8f6f4 a[60:63], v[124:127], v[44:47], a[60:63], v159, v154 op_sel_hi:[0,0,0] cbsz:4 blgp:4// 000000004248: D3AC7800 0003359F D3AD8C3C 84F2597C
	buffer_load_dwordx4 v[92:95], v170, s[16:19], 0 offen      // 000000004258: E05C1000 80045CAA
	v_mfma_scale_f32_16x16x128_f8f6f4 a[48:51], v[128:131], v[48:51], a[48:51], v159, v154 op_sel_hi:[0,0,0] cbsz:4 blgp:4// 000000004260: D3AC6000 1803359F D3AD8C30 84C26180
	v_mfma_scale_f32_16x16x128_f8f6f4 a[52:55], v[128:131], v[52:55], a[52:55], v159, v154 op_sel_hi:[0,0,0] cbsz:4 blgp:4// 000000004270: D3AC7000 1803359F D3AD8C34 84D26980
	buffer_load_dwordx4 v[96:99], v169, s[16:19], 0 offen offset:1024// 000000004280: E05C1400 800460A9
	v_mfma_scale_f32_16x16x128_f8f6f4 a[56:59], v[132:135], v[48:51], a[56:59], v159, v154 op_sel_hi:[0,0,0] cbsz:4 blgp:4// 000000004288: D3AC6800 1803359F D3AD8C38 84E26184
	v_mfma_scale_f32_16x16x128_f8f6f4 a[60:63], v[132:135], v[52:55], a[60:63], v159, v154 op_sel_hi:[0,0,0] cbsz:4 blgp:4// 000000004298: D3AC7800 1803359F D3AD8C3C 84F26984
	buffer_load_dwordx4 v[100:103], v170, s[16:19], 0 offen offset:1024// 0000000042A8: E05C1400 800464AA
	v_mfma_scale_f32_16x16x128_f8f6f4 a[128:131], v[120:123], v[56:59], a[128:131], v159, v155 op_sel_hi:[0,0,0] cbsz:4 blgp:4// 0000000042B0: D3AC6000 0003379F D3AD8C80 86027178
	v_mfma_scale_f32_16x16x128_f8f6f4 a[132:135], v[120:123], v[60:63], a[132:135], v159, v155 op_sel_hi:[0,0,0] cbsz:4 blgp:4// 0000000042C0: D3AC7000 0003379F D3AD8C84 86127978
	buffer_load_dword v157, v178, s[24:27], 0 offen            // 0000000042D0: E0501000 80069DB2
	v_mfma_scale_f32_16x16x128_f8f6f4 a[136:139], v[124:127], v[56:59], a[136:139], v159, v155 op_sel_hi:[0,0,0] cbsz:4 blgp:4// 0000000042D8: D3AC6800 0003379F D3AD8C88 8622717C
	v_mfma_scale_f32_16x16x128_f8f6f4 a[140:143], v[124:127], v[60:63], a[140:143], v159, v155 op_sel_hi:[0,0,0] cbsz:4 blgp:4// 0000000042E8: D3AC7800 0003379F D3AD8C8C 8632797C
	v_mfma_scale_f32_16x16x128_f8f6f4 a[128:131], v[128:131], v[64:67], a[128:131], v159, v155 op_sel_hi:[0,0,0] cbsz:4 blgp:4// 0000000042F8: D3AC6000 1803379F D3AD8C80 86028180
	v_mfma_scale_f32_16x16x128_f8f6f4 a[132:135], v[128:131], v[68:71], a[132:135], v159, v155 op_sel_hi:[0,0,0] cbsz:4 blgp:4// 000000004308: D3AC7000 1803379F D3AD8C84 86128980
	v_mfma_scale_f32_16x16x128_f8f6f4 a[136:139], v[132:135], v[64:67], a[136:139], v159, v155 op_sel_hi:[0,0,0] cbsz:4 blgp:4// 000000004318: D3AC6800 1803379F D3AD8C88 86228184
	v_mfma_scale_f32_16x16x128_f8f6f4 a[140:143], v[132:135], v[68:71], a[140:143], v159, v155 op_sel_hi:[0,0,0] cbsz:4 blgp:4// 000000004328: D3AC7800 1803379F D3AD8C8C 86328984
	s_waitcnt vmcnt(10)                                        // 000000004338: BF8C0F7A
	s_barrier                                                  // 00000000433C: BF8A0000
	v_mfma_scale_f32_16x16x128_f8f6f4 a[64:67], v[136:139], v[40:43], a[64:67], v160, v154 op_sel_hi:[0,0,0] cbsz:4 blgp:4// 000000004340: D3AC6000 000335A0 D3AD8C40 85025188
	s_addk_i32 s60, 0x100                                      // 000000004350: B73C0100
	ds_read_b128 v[8:11], v163                                 // 000000004354: D9FE0000 080000A3
	v_mfma_scale_f32_16x16x128_f8f6f4 a[68:71], v[136:139], v[44:47], a[68:71], v160, v154 op_sel_hi:[0,0,0] cbsz:4 blgp:4// 00000000435C: D3AC7000 000335A0 D3AD8C44 85125988
	s_cmp_lt_i32 s60, s61                                      // 00000000436C: BF043D3C
	buffer_load_dwordx4 v[104:107], v171, s[16:19], 0 offen    // 000000004370: E05C1000 800468AB
	v_mfma_scale_f32_16x16x128_f8f6f4 a[72:75], v[140:143], v[40:43], a[72:75], v160, v154 op_sel_hi:[0,0,0] cbsz:4 blgp:4// 000000004378: D3AC6800 000335A0 D3AD8C48 8522518C
	ds_read_b128 v[16:19], v163 offset:64                      // 000000004388: D9FE0040 100000A3
	v_mfma_scale_f32_16x16x128_f8f6f4 a[76:79], v[140:143], v[44:47], a[76:79], v160, v154 op_sel_hi:[0,0,0] cbsz:4 blgp:4// 000000004390: D3AC7800 000335A0 D3AD8C4C 8532598C
	buffer_load_dwordx4 v[108:111], v172, s[16:19], 0 offen    // 0000000043A0: E05C1000 80046CAC
	v_mfma_scale_f32_16x16x128_f8f6f4 a[64:67], v[144:147], v[48:51], a[64:67], v160, v154 op_sel_hi:[0,0,0] cbsz:4 blgp:4// 0000000043A8: D3AC6000 180335A0 D3AD8C40 85026190
	ds_read_b128 v[12:15], v163 offset:512                     // 0000000043B8: D9FE0200 0C0000A3
	v_mfma_scale_f32_16x16x128_f8f6f4 a[68:71], v[144:147], v[52:55], a[68:71], v160, v154 op_sel_hi:[0,0,0] cbsz:4 blgp:4// 0000000043C0: D3AC7000 180335A0 D3AD8C44 85126990
	buffer_load_dwordx4 v[112:115], v171, s[16:19], 0 offen offset:1024// 0000000043D0: E05C1400 800470AB
	v_mfma_scale_f32_16x16x128_f8f6f4 a[72:75], v[148:151], v[48:51], a[72:75], v160, v154 op_sel_hi:[0,0,0] cbsz:4 blgp:4// 0000000043D8: D3AC6800 180335A0 D3AD8C48 85226194
	ds_read_b128 v[20:23], v163 offset:576                     // 0000000043E8: D9FE0240 140000A3
	v_mfma_scale_f32_16x16x128_f8f6f4 a[76:79], v[148:151], v[52:55], a[76:79], v160, v154 op_sel_hi:[0,0,0] cbsz:4 blgp:4// 0000000043F0: D3AC7800 180335A0 D3AD8C4C 85326994
	buffer_load_dwordx4 v[116:119], v172, s[16:19], 0 offen offset:1024// 000000004400: E05C1400 800474AC
	ds_read_b32 v152, v166                                     // 000000004408: D86C0000 980000A6
	v_mfma_scale_f32_16x16x128_f8f6f4 a[144:147], v[136:139], v[56:59], a[144:147], v160, v155 op_sel_hi:[0,0,0] cbsz:4 blgp:4// 000000004410: D3AC6000 000337A0 D3AD8C90 86427188
	ds_read_b128 v[24:27], v163 offset:4224                    // 000000004420: D9FE1080 180000A3
	v_mfma_scale_f32_16x16x128_f8f6f4 a[148:151], v[136:139], v[60:63], a[148:151], v160, v155 op_sel_hi:[0,0,0] cbsz:4 blgp:4// 000000004428: D3AC7000 000337A0 D3AD8C94 86527988
	buffer_load_dword v158, v179, s[24:27], 0 offen            // 000000004438: E0501000 80069EB3
	v_mfma_scale_f32_16x16x128_f8f6f4 a[152:155], v[140:143], v[56:59], a[152:155], v160, v155 op_sel_hi:[0,0,0] cbsz:4 blgp:4// 000000004440: D3AC6800 000337A0 D3AD8C98 8662718C
	ds_read_b128 v[32:35], v163 offset:4288                    // 000000004450: D9FE10C0 200000A3
	v_mfma_scale_f32_16x16x128_f8f6f4 a[156:159], v[140:143], v[60:63], a[156:159], v160, v155 op_sel_hi:[0,0,0] cbsz:4 blgp:4// 000000004458: D3AC7800 000337A0 D3AD8C9C 8672798C
	v_mfma_scale_f32_16x16x128_f8f6f4 a[144:147], v[144:147], v[64:67], a[144:147], v160, v155 op_sel_hi:[0,0,0] cbsz:4 blgp:4// 000000004468: D3AC6000 180337A0 D3AD8C90 86428190
	ds_read_b128 v[28:31], v163 offset:4736                    // 000000004478: D9FE1280 1C0000A3
	v_mfma_scale_f32_16x16x128_f8f6f4 a[148:151], v[144:147], v[68:71], a[148:151], v160, v155 op_sel_hi:[0,0,0] cbsz:4 blgp:4// 000000004480: D3AC7000 180337A0 D3AD8C94 86528990
	v_mfma_scale_f32_16x16x128_f8f6f4 a[152:155], v[148:151], v[64:67], a[152:155], v160, v155 op_sel_hi:[0,0,0] cbsz:4 blgp:4// 000000004490: D3AC6800 180337A0 D3AD8C98 86628194
	ds_read_b128 v[36:39], v163 offset:4800                    // 0000000044A0: D9FE12C0 240000A3
	v_mfma_scale_f32_16x16x128_f8f6f4 a[156:159], v[148:151], v[68:71], a[156:159], v160, v155 op_sel_hi:[0,0,0] cbsz:4 blgp:4// 0000000044A8: D3AC7800 180337A0 D3AD8C9C 86728994
	ds_read_b32 v153, v166 offset:256                          // 0000000044B8: D86C0100 990000A6
	s_cbranch_scc0 label_0995                                  // 0000000044C0: BF840364
	s_branch label_02CF                                        // 0000000044C4: BF82FC9D

00000000000044c8 <label_0632>:
	s_waitcnt vmcnt(10) lgkmcnt(5)                             // 0000000044C8: BF8C057A
	v_mfma_scale_f32_16x16x128_f8f6f4 a[0:3], v[72:75], v[8:11], a[0:3], v156, v152 op_sel_hi:[0,0,0] cbsz:4 blgp:4// 0000000044CC: D3AC6000 0003319C D3AD8C00 84021148
	buffer_load_dwordx4 v[120:123], v173, s[16:19], 0 offen    // 0000000044DC: E05C1000 800478AD
	v_mfma_scale_f32_16x16x128_f8f6f4 a[4:7], v[72:75], v[12:15], a[4:7], v156, v152 op_sel_hi:[0,0,0] cbsz:4 blgp:4// 0000000044E4: D3AC7000 0003319C D3AD8C04 84121948
	v_mfma_scale_f32_16x16x128_f8f6f4 a[8:11], v[76:79], v[8:11], a[8:11], v156, v152 op_sel_hi:[0,0,0] cbsz:4 blgp:4// 0000000044F4: D3AC6800 0003319C D3AD8C08 8422114C
	buffer_load_dwordx4 v[124:127], v174, s[16:19], 0 offen    // 000000004504: E05C1000 80047CAE
	v_mfma_scale_f32_16x16x128_f8f6f4 a[12:15], v[76:79], v[12:15], a[12:15], v156, v152 op_sel_hi:[0,0,0] cbsz:4 blgp:4// 00000000450C: D3AC7800 0003319C D3AD8C0C 8432194C
	v_mfma_scale_f32_16x16x128_f8f6f4 a[0:3], v[80:83], v[16:19], a[0:3], v156, v152 op_sel_hi:[0,0,0] cbsz:4 blgp:4// 00000000451C: D3AC6000 1803319C D3AD8C00 84022150
	buffer_load_dwordx4 v[128:131], v173, s[16:19], 0 offen offset:1024// 00000000452C: E05C1400 800480AD
	v_mfma_scale_f32_16x16x128_f8f6f4 a[4:7], v[80:83], v[20:23], a[4:7], v156, v152 op_sel_hi:[0,0,0] cbsz:4 blgp:4// 000000004534: D3AC7000 1803319C D3AD8C04 84122950
	v_mfma_scale_f32_16x16x128_f8f6f4 a[8:11], v[84:87], v[16:19], a[8:11], v156, v152 op_sel_hi:[0,0,0] cbsz:4 blgp:4// 000000004544: D3AC6800 1803319C D3AD8C08 84222154
	buffer_load_dwordx4 v[132:135], v174, s[16:19], 0 offen offset:1024// 000000004554: E05C1400 800484AE
	v_mfma_scale_f32_16x16x128_f8f6f4 a[12:15], v[84:87], v[20:23], a[12:15], v156, v152 op_sel_hi:[0,0,0] cbsz:4 blgp:4// 00000000455C: D3AC7800 1803319C D3AD8C0C 84322954
	s_waitcnt lgkmcnt(0)                                       // 00000000456C: BF8CC07F
	v_mfma_scale_f32_16x16x128_f8f6f4 a[80:83], v[72:75], v[24:27], a[80:83], v156, v153 op_sel_hi:[0,0,0] cbsz:4 blgp:4// 000000004570: D3AC6000 0003339C D3AD8C50 85423148
	buffer_load_dword v159, v180, s[24:27], 0 offen            // 000000004580: E0501000 80069FB4
	v_mfma_scale_f32_16x16x128_f8f6f4 a[84:87], v[72:75], v[28:31], a[84:87], v156, v153 op_sel_hi:[0,0,0] cbsz:4 blgp:4// 000000004588: D3AC7000 0003339C D3AD8C54 85523948
	v_mfma_scale_f32_16x16x128_f8f6f4 a[88:91], v[76:79], v[24:27], a[88:91], v156, v153 op_sel_hi:[0,0,0] cbsz:4 blgp:4// 000000004598: D3AC6800 0003339C D3AD8C58 8562314C
	v_mfma_scale_f32_16x16x128_f8f6f4 a[92:95], v[76:79], v[28:31], a[92:95], v156, v153 op_sel_hi:[0,0,0] cbsz:4 blgp:4// 0000000045A8: D3AC7800 0003339C D3AD8C5C 8572394C
	v_mfma_scale_f32_16x16x128_f8f6f4 a[80:83], v[80:83], v[32:35], a[80:83], v156, v153 op_sel_hi:[0,0,0] cbsz:4 blgp:4// 0000000045B8: D3AC6000 1803339C D3AD8C50 85424150
	v_mfma_scale_f32_16x16x128_f8f6f4 a[84:87], v[80:83], v[36:39], a[84:87], v156, v153 op_sel_hi:[0,0,0] cbsz:4 blgp:4// 0000000045C8: D3AC7000 1803339C D3AD8C54 85524950
	v_mfma_scale_f32_16x16x128_f8f6f4 a[88:91], v[84:87], v[32:35], a[88:91], v156, v153 op_sel_hi:[0,0,0] cbsz:4 blgp:4// 0000000045D8: D3AC6800 1803339C D3AD8C58 85624154
	v_mfma_scale_f32_16x16x128_f8f6f4 a[92:95], v[84:87], v[36:39], a[92:95], v156, v153 op_sel_hi:[0,0,0] cbsz:4 blgp:4// 0000000045E8: D3AC7800 1803339C D3AD8C5C 85724954
	s_waitcnt vmcnt(10)                                        // 0000000045F8: BF8C0F7A
	v_mfma_scale_f32_16x16x128_f8f6f4 a[16:19], v[88:91], v[8:11], a[16:19], v157, v152 op_sel_hi:[0,0,0] cbsz:4 blgp:4// 0000000045FC: D3AC6000 0003319D D3AD8C10 84421158
	s_add_u32 s63, 0x100, s60                                  // 00000000460C: 803F3CFF 00000100
	buffer_load_dwordx4 v[136:139], v175, s[16:19], 0 offen    // 000000004614: E05C1000 800488AF
	v_mfma_scale_f32_16x16x128_f8f6f4 a[20:23], v[88:91], v[12:15], a[20:23], v157, v152 op_sel_hi:[0,0,0] cbsz:4 blgp:4// 00000000461C: D3AC7000 0003319D D3AD8C14 84521958
	s_cmp_lt_u32 s63, s61                                      // 00000000462C: BF0A3D3F
	s_cselect_b32 s67, s67, 0                                  // 000000004630: 85438043
	v_mfma_scale_f32_16x16x128_f8f6f4 a[24:27], v[92:95], v[8:11], a[24:27], v157, v152 op_sel_hi:[0,0,0] cbsz:4 blgp:4// 000000004634: D3AC6800 0003319D D3AD8C18 8462115C
	s_cselect_b32 s69, s69, 0                                  // 000000004644: 85458045
	buffer_load_dwordx4 v[140:143], v176, s[16:19], 0 offen    // 000000004648: E05C1000 80048CB0
	v_mfma_scale_f32_16x16x128_f8f6f4 a[28:31], v[92:95], v[12:15], a[28:31], v157, v152 op_sel_hi:[0,0,0] cbsz:4 blgp:4// 000000004650: D3AC7800 0003319D D3AD8C1C 8472195C
	v_mfma_scale_f32_16x16x128_f8f6f4 a[16:19], v[96:99], v[16:19], a[16:19], v157, v152 op_sel_hi:[0,0,0] cbsz:4 blgp:4// 000000004660: D3AC6000 1803319D D3AD8C10 84422160
	buffer_load_dwordx4 v[144:147], v175, s[16:19], 0 offen offset:1024// 000000004670: E05C1400 800490AF
	v_mfma_scale_f32_16x16x128_f8f6f4 a[20:23], v[96:99], v[20:23], a[20:23], v157, v152 op_sel_hi:[0,0,0] cbsz:4 blgp:4// 000000004678: D3AC7000 1803319D D3AD8C14 84522960
	v_mfma_scale_f32_16x16x128_f8f6f4 a[24:27], v[100:103], v[16:19], a[24:27], v157, v152 op_sel_hi:[0,0,0] cbsz:4 blgp:4// 000000004688: D3AC6800 1803319D D3AD8C18 84622164
	buffer_load_dwordx4 v[148:151], v176, s[16:19], 0 offen offset:1024// 000000004698: E05C1400 800494B0
	v_mfma_scale_f32_16x16x128_f8f6f4 a[28:31], v[100:103], v[20:23], a[28:31], v157, v152 op_sel_hi:[0,0,0] cbsz:4 blgp:4// 0000000046A0: D3AC7800 1803319D D3AD8C1C 84722964
	v_mfma_scale_f32_16x16x128_f8f6f4 a[96:99], v[88:91], v[24:27], a[96:99], v157, v153 op_sel_hi:[0,0,0] cbsz:4 blgp:4// 0000000046B0: D3AC6000 0003339D D3AD8C60 85823158
	buffer_load_dword v160, v181, s[24:27], 0 offen            // 0000000046C0: E0501000 8006A0B5
	v_mfma_scale_f32_16x16x128_f8f6f4 a[100:103], v[88:91], v[28:31], a[100:103], v157, v153 op_sel_hi:[0,0,0] cbsz:4 blgp:4// 0000000046C8: D3AC7000 0003339D D3AD8C64 85923958
	s_add_u32 s16, s16, s67                                    // 0000000046D8: 80104310
	s_addc_u32 s17, 0, s17                                     // 0000000046DC: 82111180
	v_mfma_scale_f32_16x16x128_f8f6f4 a[104:107], v[92:95], v[24:27], a[104:107], v157, v153 op_sel_hi:[0,0,0] cbsz:4 blgp:4// 0000000046E0: D3AC6800 0003339D D3AD8C68 85A2315C
	s_sub_u32 s18, s18, s67                                    // 0000000046F0: 80924312
	s_add_u32 s24, s24, s69                                    // 0000000046F4: 80184518
	v_mfma_scale_f32_16x16x128_f8f6f4 a[108:111], v[92:95], v[28:31], a[108:111], v157, v153 op_sel_hi:[0,0,0] cbsz:4 blgp:4// 0000000046F8: D3AC7800 0003339D D3AD8C6C 85B2395C
	s_addc_u32 s25, 0, s25                                     // 000000004708: 82191980
	s_sub_u32 s26, s26, s69                                    // 00000000470C: 809A451A
	v_mfma_scale_f32_16x16x128_f8f6f4 a[96:99], v[96:99], v[32:35], a[96:99], v157, v153 op_sel_hi:[0,0,0] cbsz:4 blgp:4// 000000004710: D3AC6000 1803339D D3AD8C60 85824160
	s_add_u32 m0, 0x400, s65                                   // 000000004720: 807C41FF 00000400
	buffer_load_dword v165, s[20:23], 0 offen lds              // 000000004728: E0511000 800500A5
	v_mfma_scale_f32_16x16x128_f8f6f4 a[100:103], v[96:99], v[36:39], a[100:103], v157, v153 op_sel_hi:[0,0,0] cbsz:4 blgp:4// 000000004730: D3AC7000 1803339D D3AD8C64 85924960
	v_mfma_scale_f32_16x16x128_f8f6f4 a[104:107], v[100:103], v[32:35], a[104:107], v157, v153 op_sel_hi:[0,0,0] cbsz:4 blgp:4// 000000004740: D3AC6800 1803339D D3AD8C68 85A24164
	v_mfma_scale_f32_16x16x128_f8f6f4 a[108:111], v[100:103], v[36:39], a[108:111], v157, v153 op_sel_hi:[0,0,0] cbsz:4 blgp:4// 000000004750: D3AC7800 1803339D D3AD8C6C 85B24964
	s_waitcnt vmcnt(11)                                        // 000000004760: BF8C0F7B
	v_mfma_scale_f32_16x16x128_f8f6f4 a[32:35], v[104:107], v[8:11], a[32:35], v158, v152 op_sel_hi:[0,0,0] cbsz:4 blgp:4// 000000004764: D3AC6000 0003319E D3AD8C20 84821168
	s_add_u32 m0, 0x2100, s64                                  // 000000004774: 807C40FF 00002100
	buffer_load_dwordx4 v161, s[12:15], 0 offen lds            // 00000000477C: E05D1000 800300A1
	v_mfma_scale_f32_16x16x128_f8f6f4 a[36:39], v[104:107], v[12:15], a[36:39], v158, v152 op_sel_hi:[0,0,0] cbsz:4 blgp:4// 000000004784: D3AC7000 0003319E D3AD8C24 84921968
	v_mfma_scale_f32_16x16x128_f8f6f4 a[40:43], v[108:111], v[8:11], a[40:43], v158, v152 op_sel_hi:[0,0,0] cbsz:4 blgp:4// 000000004794: D3AC6800 0003319E D3AD8C28 84A2116C
	s_add_u32 m0, 0x3180, s64                                  // 0000000047A4: 807C40FF 00003180
	buffer_load_dwordx4 v162, s[12:15], 0 offen lds            // 0000000047AC: E05D1000 800300A2
	v_mfma_scale_f32_16x16x128_f8f6f4 a[44:47], v[108:111], v[12:15], a[44:47], v158, v152 op_sel_hi:[0,0,0] cbsz:4 blgp:4// 0000000047B4: D3AC7800 0003319E D3AD8C2C 84B2196C
	s_add_u32 s62, 0x200, s60                                  // 0000000047C4: 803E3CFF 00000200
	s_cmp_lt_u32 s62, s61                                      // 0000000047CC: BF0A3D3E
	v_mfma_scale_f32_16x16x128_f8f6f4 a[32:35], v[112:115], v[16:19], a[32:35], v158, v152 op_sel_hi:[0,0,0] cbsz:4 blgp:4// 0000000047D0: D3AC6000 1803319E D3AD8C20 84822170
	s_cselect_b32 s66, s66, 0                                  // 0000000047E0: 85428042
	buffer_load_dwordx4 v[72:75], v167, s[16:19], 0 offen      // 0000000047E4: E05C1000 800448A7
	v_mfma_scale_f32_16x16x128_f8f6f4 a[36:39], v[112:115], v[20:23], a[36:39], v158, v152 op_sel_hi:[0,0,0] cbsz:4 blgp:4// 0000000047EC: D3AC7000 1803319E D3AD8C24 84922970
	s_cselect_b32 s68, s68, 0                                  // 0000000047FC: 85448044
	s_add_u32 s12, s12, s66                                    // 000000004800: 800C420C
	v_mfma_scale_f32_16x16x128_f8f6f4 a[40:43], v[116:119], v[16:19], a[40:43], v158, v152 op_sel_hi:[0,0,0] cbsz:4 blgp:4// 000000004804: D3AC6800 1803319E D3AD8C28 84A22174
	s_addc_u32 s13, 0, s13                                     // 000000004814: 820D0D80
	buffer_load_dwordx4 v[76:79], v168, s[16:19], 0 offen      // 000000004818: E05C1000 80044CA8
	v_mfma_scale_f32_16x16x128_f8f6f4 a[44:47], v[116:119], v[20:23], a[44:47], v158, v152 op_sel_hi:[0,0,0] cbsz:4 blgp:4// 000000004820: D3AC7800 1803319E D3AD8C2C 84B22974
	s_sub_u32 s14, s14, s66                                    // 000000004830: 808E420E
	s_add_u32 s20, s20, s68                                    // 000000004834: 80144414
	v_mfma_scale_f32_16x16x128_f8f6f4 a[112:115], v[104:107], v[24:27], a[112:115], v158, v153 op_sel_hi:[0,0,0] cbsz:4 blgp:4// 000000004838: D3AC6000 0003339E D3AD8C70 85C23168
	s_addc_u32 s21, 0, s21                                     // 000000004848: 82151580
	buffer_load_dwordx4 v[80:83], v167, s[16:19], 0 offen offset:1024// 00000000484C: E05C1400 800450A7
	v_mfma_scale_f32_16x16x128_f8f6f4 a[116:119], v[104:107], v[28:31], a[116:119], v158, v153 op_sel_hi:[0,0,0] cbsz:4 blgp:4// 000000004854: D3AC7000 0003339E D3AD8C74 85D23968
	s_sub_u32 s22, s22, s68                                    // 000000004864: 80964416
	v_mfma_scale_f32_16x16x128_f8f6f4 a[120:123], v[108:111], v[24:27], a[120:123], v158, v153 op_sel_hi:[0,0,0] cbsz:4 blgp:4// 000000004868: D3AC6800 0003339E D3AD8C78 85E2316C
	buffer_load_dwordx4 v[84:87], v168, s[16:19], 0 offen offset:1024// 000000004878: E05C1400 800454A8
	v_mfma_scale_f32_16x16x128_f8f6f4 a[124:127], v[108:111], v[28:31], a[124:127], v158, v153 op_sel_hi:[0,0,0] cbsz:4 blgp:4// 000000004880: D3AC7800 0003339E D3AD8C7C 85F2396C
	v_mfma_scale_f32_16x16x128_f8f6f4 a[112:115], v[112:115], v[32:35], a[112:115], v158, v153 op_sel_hi:[0,0,0] cbsz:4 blgp:4// 000000004890: D3AC6000 1803339E D3AD8C70 85C24170
	buffer_load_dword v156, v177, s[24:27], 0 offen            // 0000000048A0: E0501000 80069CB1
	v_mfma_scale_f32_16x16x128_f8f6f4 a[116:119], v[112:115], v[36:39], a[116:119], v158, v153 op_sel_hi:[0,0,0] cbsz:4 blgp:4// 0000000048A8: D3AC7000 1803339E D3AD8C74 85D24970
	v_mfma_scale_f32_16x16x128_f8f6f4 a[120:123], v[116:119], v[32:35], a[120:123], v158, v153 op_sel_hi:[0,0,0] cbsz:4 blgp:4// 0000000048B8: D3AC6800 1803339E D3AD8C78 85E24174
	v_mfma_scale_f32_16x16x128_f8f6f4 a[124:127], v[116:119], v[36:39], a[124:127], v158, v153 op_sel_hi:[0,0,0] cbsz:4 blgp:4// 0000000048C8: D3AC7800 1803339E D3AD8C7C 85F24974
	s_waitcnt vmcnt(13)                                        // 0000000048D8: BF8C0F7D
	v_mfma_scale_f32_16x16x128_f8f6f4 a[48:51], v[120:123], v[8:11], a[48:51], v159, v152 op_sel_hi:[0,0,0] cbsz:4 blgp:4// 0000000048DC: D3AC6000 0003319F D3AD8C30 84C21178
	buffer_load_dwordx4 v[88:91], v169, s[16:19], 0 offen      // 0000000048EC: E05C1000 800458A9
	v_mfma_scale_f32_16x16x128_f8f6f4 a[52:55], v[120:123], v[12:15], a[52:55], v159, v152 op_sel_hi:[0,0,0] cbsz:4 blgp:4// 0000000048F4: D3AC7000 0003319F D3AD8C34 84D21978
	v_mfma_scale_f32_16x16x128_f8f6f4 a[56:59], v[124:127], v[8:11], a[56:59], v159, v152 op_sel_hi:[0,0,0] cbsz:4 blgp:4// 000000004904: D3AC6800 0003319F D3AD8C38 84E2117C
	buffer_load_dwordx4 v[92:95], v170, s[16:19], 0 offen      // 000000004914: E05C1000 80045CAA
	v_mfma_scale_f32_16x16x128_f8f6f4 a[60:63], v[124:127], v[12:15], a[60:63], v159, v152 op_sel_hi:[0,0,0] cbsz:4 blgp:4// 00000000491C: D3AC7800 0003319F D3AD8C3C 84F2197C
	v_mfma_scale_f32_16x16x128_f8f6f4 a[48:51], v[128:131], v[16:19], a[48:51], v159, v152 op_sel_hi:[0,0,0] cbsz:4 blgp:4// 00000000492C: D3AC6000 1803319F D3AD8C30 84C22180
	buffer_load_dwordx4 v[96:99], v169, s[16:19], 0 offen offset:1024// 00000000493C: E05C1400 800460A9
	v_mfma_scale_f32_16x16x128_f8f6f4 a[52:55], v[128:131], v[20:23], a[52:55], v159, v152 op_sel_hi:[0,0,0] cbsz:4 blgp:4// 000000004944: D3AC7000 1803319F D3AD8C34 84D22980
	v_mfma_scale_f32_16x16x128_f8f6f4 a[56:59], v[132:135], v[16:19], a[56:59], v159, v152 op_sel_hi:[0,0,0] cbsz:4 blgp:4// 000000004954: D3AC6800 1803319F D3AD8C38 84E22184
	buffer_load_dwordx4 v[100:103], v170, s[16:19], 0 offen offset:1024// 000000004964: E05C1400 800464AA
	v_mfma_scale_f32_16x16x128_f8f6f4 a[60:63], v[132:135], v[20:23], a[60:63], v159, v152 op_sel_hi:[0,0,0] cbsz:4 blgp:4// 00000000496C: D3AC7800 1803319F D3AD8C3C 84F22984
	v_mfma_scale_f32_16x16x128_f8f6f4 a[128:131], v[120:123], v[24:27], a[128:131], v159, v153 op_sel_hi:[0,0,0] cbsz:4 blgp:4// 00000000497C: D3AC6000 0003339F D3AD8C80 86023178
	buffer_load_dword v157, v178, s[24:27], 0 offen            // 00000000498C: E0501000 80069DB2
	v_mfma_scale_f32_16x16x128_f8f6f4 a[132:135], v[120:123], v[28:31], a[132:135], v159, v153 op_sel_hi:[0,0,0] cbsz:4 blgp:4// 000000004994: D3AC7000 0003339F D3AD8C84 86123978
	v_mfma_scale_f32_16x16x128_f8f6f4 a[136:139], v[124:127], v[24:27], a[136:139], v159, v153 op_sel_hi:[0,0,0] cbsz:4 blgp:4// 0000000049A4: D3AC6800 0003339F D3AD8C88 8622317C
	v_mfma_scale_f32_16x16x128_f8f6f4 a[140:143], v[124:127], v[28:31], a[140:143], v159, v153 op_sel_hi:[0,0,0] cbsz:4 blgp:4// 0000000049B4: D3AC7800 0003339F D3AD8C8C 8632397C
	v_mfma_scale_f32_16x16x128_f8f6f4 a[128:131], v[128:131], v[32:35], a[128:131], v159, v153 op_sel_hi:[0,0,0] cbsz:4 blgp:4// 0000000049C4: D3AC6000 1803339F D3AD8C80 86024180
	v_mfma_scale_f32_16x16x128_f8f6f4 a[132:135], v[128:131], v[36:39], a[132:135], v159, v153 op_sel_hi:[0,0,0] cbsz:4 blgp:4// 0000000049D4: D3AC7000 1803339F D3AD8C84 86124980
	v_mfma_scale_f32_16x16x128_f8f6f4 a[136:139], v[132:135], v[32:35], a[136:139], v159, v153 op_sel_hi:[0,0,0] cbsz:4 blgp:4// 0000000049E4: D3AC6800 1803339F D3AD8C88 86224184
	v_mfma_scale_f32_16x16x128_f8f6f4 a[140:143], v[132:135], v[36:39], a[140:143], v159, v153 op_sel_hi:[0,0,0] cbsz:4 blgp:4// 0000000049F4: D3AC7800 1803339F D3AD8C8C 86324984
	s_waitcnt vmcnt(10)                                        // 000000004A04: BF8C0F7A
	s_barrier                                                  // 000000004A08: BF8A0000
	v_mfma_scale_f32_16x16x128_f8f6f4 a[64:67], v[136:139], v[8:11], a[64:67], v160, v152 op_sel_hi:[0,0,0] cbsz:4 blgp:4// 000000004A0C: D3AC6000 000331A0 D3AD8C40 85021188
	s_addk_i32 s60, 0x100                                      // 000000004A1C: B73C0100
	buffer_load_dwordx4 v[104:107], v171, s[16:19], 0 offen    // 000000004A20: E05C1000 800468AB
	v_mfma_scale_f32_16x16x128_f8f6f4 a[68:71], v[136:139], v[12:15], a[68:71], v160, v152 op_sel_hi:[0,0,0] cbsz:4 blgp:4// 000000004A28: D3AC7000 000331A0 D3AD8C44 85121988
	s_cmp_lt_i32 s60, s61                                      // 000000004A38: BF043D3C
	ds_read_b128 v[40:43], v164                                // 000000004A3C: D9FE0000 280000A4
	v_mfma_scale_f32_16x16x128_f8f6f4 a[72:75], v[140:143], v[8:11], a[72:75], v160, v152 op_sel_hi:[0,0,0] cbsz:4 blgp:4// 000000004A44: D3AC6800 000331A0 D3AD8C48 8522118C
	buffer_load_dwordx4 v[108:111], v172, s[16:19], 0 offen    // 000000004A54: E05C1000 80046CAC
	v_mfma_scale_f32_16x16x128_f8f6f4 a[76:79], v[140:143], v[12:15], a[76:79], v160, v152 op_sel_hi:[0,0,0] cbsz:4 blgp:4// 000000004A5C: D3AC7800 000331A0 D3AD8C4C 8532198C
	ds_read_b128 v[48:51], v164 offset:64                      // 000000004A6C: D9FE0040 300000A4
	v_mfma_scale_f32_16x16x128_f8f6f4 a[64:67], v[144:147], v[16:19], a[64:67], v160, v152 op_sel_hi:[0,0,0] cbsz:4 blgp:4// 000000004A74: D3AC6000 180331A0 D3AD8C40 85022190
	buffer_load_dwordx4 v[112:115], v171, s[16:19], 0 offen offset:1024// 000000004A84: E05C1400 800470AB
	v_mfma_scale_f32_16x16x128_f8f6f4 a[68:71], v[144:147], v[20:23], a[68:71], v160, v152 op_sel_hi:[0,0,0] cbsz:4 blgp:4// 000000004A8C: D3AC7000 180331A0 D3AD8C44 85122990
	ds_read_b128 v[44:47], v164 offset:512                     // 000000004A9C: D9FE0200 2C0000A4
	v_mfma_scale_f32_16x16x128_f8f6f4 a[72:75], v[148:151], v[16:19], a[72:75], v160, v152 op_sel_hi:[0,0,0] cbsz:4 blgp:4// 000000004AA4: D3AC6800 180331A0 D3AD8C48 85222194
	buffer_load_dwordx4 v[116:119], v172, s[16:19], 0 offen offset:1024// 000000004AB4: E05C1400 800474AC
	v_mfma_scale_f32_16x16x128_f8f6f4 a[76:79], v[148:151], v[20:23], a[76:79], v160, v152 op_sel_hi:[0,0,0] cbsz:4 blgp:4// 000000004ABC: D3AC7800 180331A0 D3AD8C4C 85322994
	ds_read_b128 v[52:55], v164 offset:576                     // 000000004ACC: D9FE0240 340000A4
	ds_read_b32 v154, v166 offset:1024                         // 000000004AD4: D86C0400 9A0000A6
	v_mfma_scale_f32_16x16x128_f8f6f4 a[144:147], v[136:139], v[24:27], a[144:147], v160, v153 op_sel_hi:[0,0,0] cbsz:4 blgp:4// 000000004ADC: D3AC6000 000333A0 D3AD8C90 86423188
	buffer_load_dword v158, v179, s[24:27], 0 offen            // 000000004AEC: E0501000 80069EB3
	v_mfma_scale_f32_16x16x128_f8f6f4 a[148:151], v[136:139], v[28:31], a[148:151], v160, v153 op_sel_hi:[0,0,0] cbsz:4 blgp:4// 000000004AF4: D3AC7000 000333A0 D3AD8C94 86523988
	ds_read_b128 v[56:59], v164 offset:4224                    // 000000004B04: D9FE1080 380000A4
	v_mfma_scale_f32_16x16x128_f8f6f4 a[152:155], v[140:143], v[24:27], a[152:155], v160, v153 op_sel_hi:[0,0,0] cbsz:4 blgp:4// 000000004B0C: D3AC6800 000333A0 D3AD8C98 8662318C
	v_mfma_scale_f32_16x16x128_f8f6f4 a[156:159], v[140:143], v[28:31], a[156:159], v160, v153 op_sel_hi:[0,0,0] cbsz:4 blgp:4// 000000004B1C: D3AC7800 000333A0 D3AD8C9C 8672398C
	ds_read_b128 v[64:67], v164 offset:4288                    // 000000004B2C: D9FE10C0 400000A4
	v_mfma_scale_f32_16x16x128_f8f6f4 a[144:147], v[144:147], v[32:35], a[144:147], v160, v153 op_sel_hi:[0,0,0] cbsz:4 blgp:4// 000000004B34: D3AC6000 180333A0 D3AD8C90 86424190
	v_mfma_scale_f32_16x16x128_f8f6f4 a[148:151], v[144:147], v[36:39], a[148:151], v160, v153 op_sel_hi:[0,0,0] cbsz:4 blgp:4// 000000004B44: D3AC7000 180333A0 D3AD8C94 86524990
	ds_read_b128 v[60:63], v164 offset:4736                    // 000000004B54: D9FE1280 3C0000A4
	v_mfma_scale_f32_16x16x128_f8f6f4 a[152:155], v[148:151], v[32:35], a[152:155], v160, v153 op_sel_hi:[0,0,0] cbsz:4 blgp:4// 000000004B5C: D3AC6800 180333A0 D3AD8C98 86624194
	v_mfma_scale_f32_16x16x128_f8f6f4 a[156:159], v[148:151], v[36:39], a[156:159], v160, v153 op_sel_hi:[0,0,0] cbsz:4 blgp:4// 000000004B6C: D3AC7800 180333A0 D3AD8C9C 86724994
	ds_read_b128 v[68:71], v164 offset:4800                    // 000000004B7C: D9FE12C0 440000A4
	ds_read_b32 v155, v166 offset:1280                         // 000000004B84: D86C0500 9B0000A6
	s_cbranch_scc0 label_0995                                  // 000000004B8C: BF8401B1
	s_waitcnt vmcnt(10) lgkmcnt(5)                             // 000000004B90: BF8C057A
	v_mfma_scale_f32_16x16x128_f8f6f4 a[0:3], v[72:75], v[40:43], a[0:3], v156, v154 op_sel_hi:[0,0,0] cbsz:4 blgp:4// 000000004B94: D3AC6000 0003359C D3AD8C00 84025148
	buffer_load_dwordx4 v[120:123], v173, s[16:19], 0 offen    // 000000004BA4: E05C1000 800478AD
	v_mfma_scale_f32_16x16x128_f8f6f4 a[4:7], v[72:75], v[44:47], a[4:7], v156, v154 op_sel_hi:[0,0,0] cbsz:4 blgp:4// 000000004BAC: D3AC7000 0003359C D3AD8C04 84125948
	v_mfma_scale_f32_16x16x128_f8f6f4 a[8:11], v[76:79], v[40:43], a[8:11], v156, v154 op_sel_hi:[0,0,0] cbsz:4 blgp:4// 000000004BBC: D3AC6800 0003359C D3AD8C08 8422514C
	buffer_load_dwordx4 v[124:127], v174, s[16:19], 0 offen    // 000000004BCC: E05C1000 80047CAE
	v_mfma_scale_f32_16x16x128_f8f6f4 a[12:15], v[76:79], v[44:47], a[12:15], v156, v154 op_sel_hi:[0,0,0] cbsz:4 blgp:4// 000000004BD4: D3AC7800 0003359C D3AD8C0C 8432594C
	v_mfma_scale_f32_16x16x128_f8f6f4 a[0:3], v[80:83], v[48:51], a[0:3], v156, v154 op_sel_hi:[0,0,0] cbsz:4 blgp:4// 000000004BE4: D3AC6000 1803359C D3AD8C00 84026150
	buffer_load_dwordx4 v[128:131], v173, s[16:19], 0 offen offset:1024// 000000004BF4: E05C1400 800480AD
	v_mfma_scale_f32_16x16x128_f8f6f4 a[4:7], v[80:83], v[52:55], a[4:7], v156, v154 op_sel_hi:[0,0,0] cbsz:4 blgp:4// 000000004BFC: D3AC7000 1803359C D3AD8C04 84126950
	v_mfma_scale_f32_16x16x128_f8f6f4 a[8:11], v[84:87], v[48:51], a[8:11], v156, v154 op_sel_hi:[0,0,0] cbsz:4 blgp:4// 000000004C0C: D3AC6800 1803359C D3AD8C08 84226154
	buffer_load_dwordx4 v[132:135], v174, s[16:19], 0 offen offset:1024// 000000004C1C: E05C1400 800484AE
	v_mfma_scale_f32_16x16x128_f8f6f4 a[12:15], v[84:87], v[52:55], a[12:15], v156, v154 op_sel_hi:[0,0,0] cbsz:4 blgp:4// 000000004C24: D3AC7800 1803359C D3AD8C0C 84326954
	s_waitcnt lgkmcnt(0)                                       // 000000004C34: BF8CC07F
	v_mfma_scale_f32_16x16x128_f8f6f4 a[80:83], v[72:75], v[56:59], a[80:83], v156, v155 op_sel_hi:[0,0,0] cbsz:4 blgp:4// 000000004C38: D3AC6000 0003379C D3AD8C50 85427148
	buffer_load_dword v159, v180, s[24:27], 0 offen            // 000000004C48: E0501000 80069FB4
	v_mfma_scale_f32_16x16x128_f8f6f4 a[84:87], v[72:75], v[60:63], a[84:87], v156, v155 op_sel_hi:[0,0,0] cbsz:4 blgp:4// 000000004C50: D3AC7000 0003379C D3AD8C54 85527948
	v_mfma_scale_f32_16x16x128_f8f6f4 a[88:91], v[76:79], v[56:59], a[88:91], v156, v155 op_sel_hi:[0,0,0] cbsz:4 blgp:4// 000000004C60: D3AC6800 0003379C D3AD8C58 8562714C
	v_mfma_scale_f32_16x16x128_f8f6f4 a[92:95], v[76:79], v[60:63], a[92:95], v156, v155 op_sel_hi:[0,0,0] cbsz:4 blgp:4// 000000004C70: D3AC7800 0003379C D3AD8C5C 8572794C
	v_mfma_scale_f32_16x16x128_f8f6f4 a[80:83], v[80:83], v[64:67], a[80:83], v156, v155 op_sel_hi:[0,0,0] cbsz:4 blgp:4// 000000004C80: D3AC6000 1803379C D3AD8C50 85428150
	v_mfma_scale_f32_16x16x128_f8f6f4 a[84:87], v[80:83], v[68:71], a[84:87], v156, v155 op_sel_hi:[0,0,0] cbsz:4 blgp:4// 000000004C90: D3AC7000 1803379C D3AD8C54 85528950
	v_mfma_scale_f32_16x16x128_f8f6f4 a[88:91], v[84:87], v[64:67], a[88:91], v156, v155 op_sel_hi:[0,0,0] cbsz:4 blgp:4// 000000004CA0: D3AC6800 1803379C D3AD8C58 85628154
	v_mfma_scale_f32_16x16x128_f8f6f4 a[92:95], v[84:87], v[68:71], a[92:95], v156, v155 op_sel_hi:[0,0,0] cbsz:4 blgp:4// 000000004CB0: D3AC7800 1803379C D3AD8C5C 85728954
	s_waitcnt vmcnt(10)                                        // 000000004CC0: BF8C0F7A
	v_mfma_scale_f32_16x16x128_f8f6f4 a[16:19], v[88:91], v[40:43], a[16:19], v157, v154 op_sel_hi:[0,0,0] cbsz:4 blgp:4// 000000004CC4: D3AC6000 0003359D D3AD8C10 84425158
	s_add_u32 s63, 0x100, s60                                  // 000000004CD4: 803F3CFF 00000100
	buffer_load_dwordx4 v[136:139], v175, s[16:19], 0 offen    // 000000004CDC: E05C1000 800488AF
	v_mfma_scale_f32_16x16x128_f8f6f4 a[20:23], v[88:91], v[44:47], a[20:23], v157, v154 op_sel_hi:[0,0,0] cbsz:4 blgp:4// 000000004CE4: D3AC7000 0003359D D3AD8C14 84525958
	s_cmp_lt_u32 s63, s61                                      // 000000004CF4: BF0A3D3F
	s_cselect_b32 s67, s67, 0                                  // 000000004CF8: 85438043
	v_mfma_scale_f32_16x16x128_f8f6f4 a[24:27], v[92:95], v[40:43], a[24:27], v157, v154 op_sel_hi:[0,0,0] cbsz:4 blgp:4// 000000004CFC: D3AC6800 0003359D D3AD8C18 8462515C
	s_cselect_b32 s69, s69, 0                                  // 000000004D0C: 85458045
	buffer_load_dwordx4 v[140:143], v176, s[16:19], 0 offen    // 000000004D10: E05C1000 80048CB0
	v_mfma_scale_f32_16x16x128_f8f6f4 a[28:31], v[92:95], v[44:47], a[28:31], v157, v154 op_sel_hi:[0,0,0] cbsz:4 blgp:4// 000000004D18: D3AC7800 0003359D D3AD8C1C 8472595C
	v_mfma_scale_f32_16x16x128_f8f6f4 a[16:19], v[96:99], v[48:51], a[16:19], v157, v154 op_sel_hi:[0,0,0] cbsz:4 blgp:4// 000000004D28: D3AC6000 1803359D D3AD8C10 84426160
	buffer_load_dwordx4 v[144:147], v175, s[16:19], 0 offen offset:1024// 000000004D38: E05C1400 800490AF
	v_mfma_scale_f32_16x16x128_f8f6f4 a[20:23], v[96:99], v[52:55], a[20:23], v157, v154 op_sel_hi:[0,0,0] cbsz:4 blgp:4// 000000004D40: D3AC7000 1803359D D3AD8C14 84526960
	v_mfma_scale_f32_16x16x128_f8f6f4 a[24:27], v[100:103], v[48:51], a[24:27], v157, v154 op_sel_hi:[0,0,0] cbsz:4 blgp:4// 000000004D50: D3AC6800 1803359D D3AD8C18 84626164
	buffer_load_dwordx4 v[148:151], v176, s[16:19], 0 offen offset:1024// 000000004D60: E05C1400 800494B0
	v_mfma_scale_f32_16x16x128_f8f6f4 a[28:31], v[100:103], v[52:55], a[28:31], v157, v154 op_sel_hi:[0,0,0] cbsz:4 blgp:4// 000000004D68: D3AC7800 1803359D D3AD8C1C 84726964
	v_mfma_scale_f32_16x16x128_f8f6f4 a[96:99], v[88:91], v[56:59], a[96:99], v157, v155 op_sel_hi:[0,0,0] cbsz:4 blgp:4// 000000004D78: D3AC6000 0003379D D3AD8C60 85827158
	buffer_load_dword v160, v181, s[24:27], 0 offen            // 000000004D88: E0501000 8006A0B5
	v_mfma_scale_f32_16x16x128_f8f6f4 a[100:103], v[88:91], v[60:63], a[100:103], v157, v155 op_sel_hi:[0,0,0] cbsz:4 blgp:4// 000000004D90: D3AC7000 0003379D D3AD8C64 85927958
	s_add_u32 s16, s16, s67                                    // 000000004DA0: 80104310
	s_addc_u32 s17, 0, s17                                     // 000000004DA4: 82111180
	v_mfma_scale_f32_16x16x128_f8f6f4 a[104:107], v[92:95], v[56:59], a[104:107], v157, v155 op_sel_hi:[0,0,0] cbsz:4 blgp:4// 000000004DA8: D3AC6800 0003379D D3AD8C68 85A2715C
	s_sub_u32 s18, s18, s67                                    // 000000004DB8: 80924312
	s_add_u32 s24, s24, s69                                    // 000000004DBC: 80184518
	v_mfma_scale_f32_16x16x128_f8f6f4 a[108:111], v[92:95], v[60:63], a[108:111], v157, v155 op_sel_hi:[0,0,0] cbsz:4 blgp:4// 000000004DC0: D3AC7800 0003379D D3AD8C6C 85B2795C
	s_addc_u32 s25, 0, s25                                     // 000000004DD0: 82191980
	s_sub_u32 s26, s26, s69                                    // 000000004DD4: 809A451A
	v_mfma_scale_f32_16x16x128_f8f6f4 a[96:99], v[96:99], v[64:67], a[96:99], v157, v155 op_sel_hi:[0,0,0] cbsz:4 blgp:4// 000000004DD8: D3AC6000 1803379D D3AD8C60 85828160
	s_add_u32 m0, 0, s65                                       // 000000004DE8: 807C4180
	buffer_load_dword v165, s[20:23], 0 offen lds              // 000000004DEC: E0511000 800500A5
	v_mfma_scale_f32_16x16x128_f8f6f4 a[100:103], v[96:99], v[68:71], a[100:103], v157, v155 op_sel_hi:[0,0,0] cbsz:4 blgp:4// 000000004DF4: D3AC7000 1803379D D3AD8C64 85928960
	v_mfma_scale_f32_16x16x128_f8f6f4 a[104:107], v[100:103], v[64:67], a[104:107], v157, v155 op_sel_hi:[0,0,0] cbsz:4 blgp:4// 000000004E04: D3AC6800 1803379D D3AD8C68 85A28164
	v_mfma_scale_f32_16x16x128_f8f6f4 a[108:111], v[100:103], v[68:71], a[108:111], v157, v155 op_sel_hi:[0,0,0] cbsz:4 blgp:4// 000000004E14: D3AC7800 1803379D D3AD8C6C 85B28964
	s_waitcnt vmcnt(11)                                        // 000000004E24: BF8C0F7B
	v_mfma_scale_f32_16x16x128_f8f6f4 a[32:35], v[104:107], v[40:43], a[32:35], v158, v154 op_sel_hi:[0,0,0] cbsz:4 blgp:4// 000000004E28: D3AC6000 0003359E D3AD8C20 84825168
	s_add_u32 m0, 0, s64                                       // 000000004E38: 807C4080
	buffer_load_dwordx4 v161, s[12:15], 0 offen lds            // 000000004E3C: E05D1000 800300A1
	v_mfma_scale_f32_16x16x128_f8f6f4 a[36:39], v[104:107], v[44:47], a[36:39], v158, v154 op_sel_hi:[0,0,0] cbsz:4 blgp:4// 000000004E44: D3AC7000 0003359E D3AD8C24 84925968
	v_mfma_scale_f32_16x16x128_f8f6f4 a[40:43], v[108:111], v[40:43], a[40:43], v158, v154 op_sel_hi:[0,0,0] cbsz:4 blgp:4// 000000004E54: D3AC6800 0003359E D3AD8C28 84A2516C
	s_add_u32 m0, 0x1080, s64                                  // 000000004E64: 807C40FF 00001080
	buffer_load_dwordx4 v162, s[12:15], 0 offen lds            // 000000004E6C: E05D1000 800300A2
	v_mfma_scale_f32_16x16x128_f8f6f4 a[44:47], v[108:111], v[44:47], a[44:47], v158, v154 op_sel_hi:[0,0,0] cbsz:4 blgp:4// 000000004E74: D3AC7800 0003359E D3AD8C2C 84B2596C
	s_add_u32 s62, 0x200, s60                                  // 000000004E84: 803E3CFF 00000200
	s_cmp_lt_u32 s62, s61                                      // 000000004E8C: BF0A3D3E
	v_mfma_scale_f32_16x16x128_f8f6f4 a[32:35], v[112:115], v[48:51], a[32:35], v158, v154 op_sel_hi:[0,0,0] cbsz:4 blgp:4// 000000004E90: D3AC6000 1803359E D3AD8C20 84826170
	s_cselect_b32 s66, s66, 0                                  // 000000004EA0: 85428042
	buffer_load_dwordx4 v[72:75], v167, s[16:19], 0 offen      // 000000004EA4: E05C1000 800448A7
	v_mfma_scale_f32_16x16x128_f8f6f4 a[36:39], v[112:115], v[52:55], a[36:39], v158, v154 op_sel_hi:[0,0,0] cbsz:4 blgp:4// 000000004EAC: D3AC7000 1803359E D3AD8C24 84926970
	s_cselect_b32 s68, s68, 0                                  // 000000004EBC: 85448044
	s_add_u32 s12, s12, s66                                    // 000000004EC0: 800C420C
	v_mfma_scale_f32_16x16x128_f8f6f4 a[40:43], v[116:119], v[48:51], a[40:43], v158, v154 op_sel_hi:[0,0,0] cbsz:4 blgp:4// 000000004EC4: D3AC6800 1803359E D3AD8C28 84A26174
	s_addc_u32 s13, 0, s13                                     // 000000004ED4: 820D0D80
	buffer_load_dwordx4 v[76:79], v168, s[16:19], 0 offen      // 000000004ED8: E05C1000 80044CA8
	v_mfma_scale_f32_16x16x128_f8f6f4 a[44:47], v[116:119], v[52:55], a[44:47], v158, v154 op_sel_hi:[0,0,0] cbsz:4 blgp:4// 000000004EE0: D3AC7800 1803359E D3AD8C2C 84B26974
	s_sub_u32 s14, s14, s66                                    // 000000004EF0: 808E420E
	s_add_u32 s20, s20, s68                                    // 000000004EF4: 80144414
	v_mfma_scale_f32_16x16x128_f8f6f4 a[112:115], v[104:107], v[56:59], a[112:115], v158, v155 op_sel_hi:[0,0,0] cbsz:4 blgp:4// 000000004EF8: D3AC6000 0003379E D3AD8C70 85C27168
	s_addc_u32 s21, 0, s21                                     // 000000004F08: 82151580
	buffer_load_dwordx4 v[80:83], v167, s[16:19], 0 offen offset:1024// 000000004F0C: E05C1400 800450A7
	v_mfma_scale_f32_16x16x128_f8f6f4 a[116:119], v[104:107], v[60:63], a[116:119], v158, v155 op_sel_hi:[0,0,0] cbsz:4 blgp:4// 000000004F14: D3AC7000 0003379E D3AD8C74 85D27968
	s_sub_u32 s22, s22, s68                                    // 000000004F24: 80964416
	v_mfma_scale_f32_16x16x128_f8f6f4 a[120:123], v[108:111], v[56:59], a[120:123], v158, v155 op_sel_hi:[0,0,0] cbsz:4 blgp:4// 000000004F28: D3AC6800 0003379E D3AD8C78 85E2716C
	buffer_load_dwordx4 v[84:87], v168, s[16:19], 0 offen offset:1024// 000000004F38: E05C1400 800454A8
	v_mfma_scale_f32_16x16x128_f8f6f4 a[124:127], v[108:111], v[60:63], a[124:127], v158, v155 op_sel_hi:[0,0,0] cbsz:4 blgp:4// 000000004F40: D3AC7800 0003379E D3AD8C7C 85F2796C
	v_mfma_scale_f32_16x16x128_f8f6f4 a[112:115], v[112:115], v[64:67], a[112:115], v158, v155 op_sel_hi:[0,0,0] cbsz:4 blgp:4// 000000004F50: D3AC6000 1803379E D3AD8C70 85C28170
	buffer_load_dword v156, v177, s[24:27], 0 offen            // 000000004F60: E0501000 80069CB1
	v_mfma_scale_f32_16x16x128_f8f6f4 a[116:119], v[112:115], v[68:71], a[116:119], v158, v155 op_sel_hi:[0,0,0] cbsz:4 blgp:4// 000000004F68: D3AC7000 1803379E D3AD8C74 85D28970
	v_mfma_scale_f32_16x16x128_f8f6f4 a[120:123], v[116:119], v[64:67], a[120:123], v158, v155 op_sel_hi:[0,0,0] cbsz:4 blgp:4// 000000004F78: D3AC6800 1803379E D3AD8C78 85E28174
	v_mfma_scale_f32_16x16x128_f8f6f4 a[124:127], v[116:119], v[68:71], a[124:127], v158, v155 op_sel_hi:[0,0,0] cbsz:4 blgp:4// 000000004F88: D3AC7800 1803379E D3AD8C7C 85F28974
	s_waitcnt vmcnt(13)                                        // 000000004F98: BF8C0F7D
	v_mfma_scale_f32_16x16x128_f8f6f4 a[48:51], v[120:123], v[40:43], a[48:51], v159, v154 op_sel_hi:[0,0,0] cbsz:4 blgp:4// 000000004F9C: D3AC6000 0003359F D3AD8C30 84C25178
	buffer_load_dwordx4 v[88:91], v169, s[16:19], 0 offen      // 000000004FAC: E05C1000 800458A9
	v_mfma_scale_f32_16x16x128_f8f6f4 a[52:55], v[120:123], v[44:47], a[52:55], v159, v154 op_sel_hi:[0,0,0] cbsz:4 blgp:4// 000000004FB4: D3AC7000 0003359F D3AD8C34 84D25978
	v_mfma_scale_f32_16x16x128_f8f6f4 a[56:59], v[124:127], v[40:43], a[56:59], v159, v154 op_sel_hi:[0,0,0] cbsz:4 blgp:4// 000000004FC4: D3AC6800 0003359F D3AD8C38 84E2517C
	buffer_load_dwordx4 v[92:95], v170, s[16:19], 0 offen      // 000000004FD4: E05C1000 80045CAA
	v_mfma_scale_f32_16x16x128_f8f6f4 a[60:63], v[124:127], v[44:47], a[60:63], v159, v154 op_sel_hi:[0,0,0] cbsz:4 blgp:4// 000000004FDC: D3AC7800 0003359F D3AD8C3C 84F2597C
	v_mfma_scale_f32_16x16x128_f8f6f4 a[48:51], v[128:131], v[48:51], a[48:51], v159, v154 op_sel_hi:[0,0,0] cbsz:4 blgp:4// 000000004FEC: D3AC6000 1803359F D3AD8C30 84C26180
	buffer_load_dwordx4 v[96:99], v169, s[16:19], 0 offen offset:1024// 000000004FFC: E05C1400 800460A9
	v_mfma_scale_f32_16x16x128_f8f6f4 a[52:55], v[128:131], v[52:55], a[52:55], v159, v154 op_sel_hi:[0,0,0] cbsz:4 blgp:4// 000000005004: D3AC7000 1803359F D3AD8C34 84D26980
	v_mfma_scale_f32_16x16x128_f8f6f4 a[56:59], v[132:135], v[48:51], a[56:59], v159, v154 op_sel_hi:[0,0,0] cbsz:4 blgp:4// 000000005014: D3AC6800 1803359F D3AD8C38 84E26184
	buffer_load_dwordx4 v[100:103], v170, s[16:19], 0 offen offset:1024// 000000005024: E05C1400 800464AA
	v_mfma_scale_f32_16x16x128_f8f6f4 a[60:63], v[132:135], v[52:55], a[60:63], v159, v154 op_sel_hi:[0,0,0] cbsz:4 blgp:4// 00000000502C: D3AC7800 1803359F D3AD8C3C 84F26984
	v_mfma_scale_f32_16x16x128_f8f6f4 a[128:131], v[120:123], v[56:59], a[128:131], v159, v155 op_sel_hi:[0,0,0] cbsz:4 blgp:4// 00000000503C: D3AC6000 0003379F D3AD8C80 86027178
	buffer_load_dword v157, v178, s[24:27], 0 offen            // 00000000504C: E0501000 80069DB2
	v_mfma_scale_f32_16x16x128_f8f6f4 a[132:135], v[120:123], v[60:63], a[132:135], v159, v155 op_sel_hi:[0,0,0] cbsz:4 blgp:4// 000000005054: D3AC7000 0003379F D3AD8C84 86127978
	v_mfma_scale_f32_16x16x128_f8f6f4 a[136:139], v[124:127], v[56:59], a[136:139], v159, v155 op_sel_hi:[0,0,0] cbsz:4 blgp:4// 000000005064: D3AC6800 0003379F D3AD8C88 8622717C
	v_mfma_scale_f32_16x16x128_f8f6f4 a[140:143], v[124:127], v[60:63], a[140:143], v159, v155 op_sel_hi:[0,0,0] cbsz:4 blgp:4// 000000005074: D3AC7800 0003379F D3AD8C8C 8632797C
	v_mfma_scale_f32_16x16x128_f8f6f4 a[128:131], v[128:131], v[64:67], a[128:131], v159, v155 op_sel_hi:[0,0,0] cbsz:4 blgp:4// 000000005084: D3AC6000 1803379F D3AD8C80 86028180
	v_mfma_scale_f32_16x16x128_f8f6f4 a[132:135], v[128:131], v[68:71], a[132:135], v159, v155 op_sel_hi:[0,0,0] cbsz:4 blgp:4// 000000005094: D3AC7000 1803379F D3AD8C84 86128980
	v_mfma_scale_f32_16x16x128_f8f6f4 a[136:139], v[132:135], v[64:67], a[136:139], v159, v155 op_sel_hi:[0,0,0] cbsz:4 blgp:4// 0000000050A4: D3AC6800 1803379F D3AD8C88 86228184
	v_mfma_scale_f32_16x16x128_f8f6f4 a[140:143], v[132:135], v[68:71], a[140:143], v159, v155 op_sel_hi:[0,0,0] cbsz:4 blgp:4// 0000000050B4: D3AC7800 1803379F D3AD8C8C 86328984
	s_waitcnt vmcnt(10)                                        // 0000000050C4: BF8C0F7A
	s_barrier                                                  // 0000000050C8: BF8A0000
	v_mfma_scale_f32_16x16x128_f8f6f4 a[64:67], v[136:139], v[40:43], a[64:67], v160, v154 op_sel_hi:[0,0,0] cbsz:4 blgp:4// 0000000050CC: D3AC6000 000335A0 D3AD8C40 85025188
	s_addk_i32 s60, 0x100                                      // 0000000050DC: B73C0100
	buffer_load_dwordx4 v[104:107], v171, s[16:19], 0 offen    // 0000000050E0: E05C1000 800468AB
	v_mfma_scale_f32_16x16x128_f8f6f4 a[68:71], v[136:139], v[44:47], a[68:71], v160, v154 op_sel_hi:[0,0,0] cbsz:4 blgp:4// 0000000050E8: D3AC7000 000335A0 D3AD8C44 85125988
	s_cmp_lt_i32 s60, s61                                      // 0000000050F8: BF043D3C
	ds_read_b128 v[8:11], v163                                 // 0000000050FC: D9FE0000 080000A3
	v_mfma_scale_f32_16x16x128_f8f6f4 a[72:75], v[140:143], v[40:43], a[72:75], v160, v154 op_sel_hi:[0,0,0] cbsz:4 blgp:4// 000000005104: D3AC6800 000335A0 D3AD8C48 8522518C
	buffer_load_dwordx4 v[108:111], v172, s[16:19], 0 offen    // 000000005114: E05C1000 80046CAC
	v_mfma_scale_f32_16x16x128_f8f6f4 a[76:79], v[140:143], v[44:47], a[76:79], v160, v154 op_sel_hi:[0,0,0] cbsz:4 blgp:4// 00000000511C: D3AC7800 000335A0 D3AD8C4C 8532598C
	ds_read_b128 v[16:19], v163 offset:64                      // 00000000512C: D9FE0040 100000A3
	v_mfma_scale_f32_16x16x128_f8f6f4 a[64:67], v[144:147], v[48:51], a[64:67], v160, v154 op_sel_hi:[0,0,0] cbsz:4 blgp:4// 000000005134: D3AC6000 180335A0 D3AD8C40 85026190
	buffer_load_dwordx4 v[112:115], v171, s[16:19], 0 offen offset:1024// 000000005144: E05C1400 800470AB
	v_mfma_scale_f32_16x16x128_f8f6f4 a[68:71], v[144:147], v[52:55], a[68:71], v160, v154 op_sel_hi:[0,0,0] cbsz:4 blgp:4// 00000000514C: D3AC7000 180335A0 D3AD8C44 85126990
	ds_read_b128 v[12:15], v163 offset:512                     // 00000000515C: D9FE0200 0C0000A3
	v_mfma_scale_f32_16x16x128_f8f6f4 a[72:75], v[148:151], v[48:51], a[72:75], v160, v154 op_sel_hi:[0,0,0] cbsz:4 blgp:4// 000000005164: D3AC6800 180335A0 D3AD8C48 85226194
	buffer_load_dwordx4 v[116:119], v172, s[16:19], 0 offen offset:1024// 000000005174: E05C1400 800474AC
	v_mfma_scale_f32_16x16x128_f8f6f4 a[76:79], v[148:151], v[52:55], a[76:79], v160, v154 op_sel_hi:[0,0,0] cbsz:4 blgp:4// 00000000517C: D3AC7800 180335A0 D3AD8C4C 85326994
	ds_read_b128 v[20:23], v163 offset:576                     // 00000000518C: D9FE0240 140000A3
	ds_read_b32 v152, v166                                     // 000000005194: D86C0000 980000A6
	v_mfma_scale_f32_16x16x128_f8f6f4 a[144:147], v[136:139], v[56:59], a[144:147], v160, v155 op_sel_hi:[0,0,0] cbsz:4 blgp:4// 00000000519C: D3AC6000 000337A0 D3AD8C90 86427188
	buffer_load_dword v158, v179, s[24:27], 0 offen            // 0000000051AC: E0501000 80069EB3
	v_mfma_scale_f32_16x16x128_f8f6f4 a[148:151], v[136:139], v[60:63], a[148:151], v160, v155 op_sel_hi:[0,0,0] cbsz:4 blgp:4// 0000000051B4: D3AC7000 000337A0 D3AD8C94 86527988
	ds_read_b128 v[24:27], v163 offset:4224                    // 0000000051C4: D9FE1080 180000A3
	v_mfma_scale_f32_16x16x128_f8f6f4 a[152:155], v[140:143], v[56:59], a[152:155], v160, v155 op_sel_hi:[0,0,0] cbsz:4 blgp:4// 0000000051CC: D3AC6800 000337A0 D3AD8C98 8662718C
	v_mfma_scale_f32_16x16x128_f8f6f4 a[156:159], v[140:143], v[60:63], a[156:159], v160, v155 op_sel_hi:[0,0,0] cbsz:4 blgp:4// 0000000051DC: D3AC7800 000337A0 D3AD8C9C 8672798C
	ds_read_b128 v[32:35], v163 offset:4288                    // 0000000051EC: D9FE10C0 200000A3
	v_mfma_scale_f32_16x16x128_f8f6f4 a[144:147], v[144:147], v[64:67], a[144:147], v160, v155 op_sel_hi:[0,0,0] cbsz:4 blgp:4// 0000000051F4: D3AC6000 180337A0 D3AD8C90 86428190
	v_mfma_scale_f32_16x16x128_f8f6f4 a[148:151], v[144:147], v[68:71], a[148:151], v160, v155 op_sel_hi:[0,0,0] cbsz:4 blgp:4// 000000005204: D3AC7000 180337A0 D3AD8C94 86528990
	ds_read_b128 v[28:31], v163 offset:4736                    // 000000005214: D9FE1280 1C0000A3
	v_mfma_scale_f32_16x16x128_f8f6f4 a[152:155], v[148:151], v[64:67], a[152:155], v160, v155 op_sel_hi:[0,0,0] cbsz:4 blgp:4// 00000000521C: D3AC6800 180337A0 D3AD8C98 86628194
	v_mfma_scale_f32_16x16x128_f8f6f4 a[156:159], v[148:151], v[68:71], a[156:159], v160, v155 op_sel_hi:[0,0,0] cbsz:4 blgp:4// 00000000522C: D3AC7800 180337A0 D3AD8C9C 86728994
	ds_read_b128 v[36:39], v163 offset:4800                    // 00000000523C: D9FE12C0 240000A3
	ds_read_b32 v153, v166 offset:256                          // 000000005244: D86C0100 990000A6
	s_cbranch_scc0 label_0995                                  // 00000000524C: BF840001
	s_branch label_0632                                        // 000000005250: BF82FC9D

0000000000005254 <label_0995>:
	s_waitcnt lgkmcnt(0)                                       // 000000005254: BF8CC07F
	s_mul_i32 s62, s47, 0x280                                  // 000000005258: 923EFF2F 00000280
	s_mul_i32 s63, s46, 0xa0                                   // 000000005260: 923FFF2E 000000A0
	s_add_u32 s60, s62, s63                                    // 000000005268: 803C3F3E
	s_add_u32 s62, s60, 0xa0                                   // 00000000526C: 803EFF3C 000000A0
	s_cmp_lt_i32 s44, s62                                      // 000000005274: BF043E2C
	s_cbranch_scc1 label_0C29                                  // 000000005278: BF85028A
	s_mul_i32 s62, s36, 16                                     // 00000000527C: 923E9024
	v_add_u32_e32 v186, 0, v182                                // 000000005280: 69756C80
	v_accvgpr_read_b32 v8, a0                                  // 000000005284: D3D84008 18000100
	v_accvgpr_read_b32 v9, a1                                  // 00000000528C: D3D84009 18000101
	v_accvgpr_read_b32 v10, a2                                 // 000000005294: D3D8400A 18000102
	v_accvgpr_read_b32 v11, a3                                 // 00000000529C: D3D8400B 18000103
	v_accvgpr_read_b32 v12, a8                                 // 0000000052A4: D3D8400C 18000108
	v_accvgpr_read_b32 v13, a9                                 // 0000000052AC: D3D8400D 18000109
	v_accvgpr_read_b32 v14, a10                                // 0000000052B4: D3D8400E 1800010A
	v_accvgpr_read_b32 v15, a11                                // 0000000052BC: D3D8400F 1800010B
	v_cvt_pk_bf16_f32 v16, v8, v9                              // 0000000052C4: D2680010 00021308
	v_cvt_pk_bf16_f32 v17, v10, v11                            // 0000000052CC: D2680011 0002170A
	v_cvt_pk_bf16_f32 v18, v12, v13                            // 0000000052D4: D2680012 00021B0C
	v_cvt_pk_bf16_f32 v19, v14, v15                            // 0000000052DC: D2680013 00021F0E
	s_nop 1                                                    // 0000000052E4: BF800001
	v_permlane16_swap_b32_e32 v16, v18                         // 0000000052E8: 7E20B312
	s_nop 1                                                    // 0000000052EC: BF800001
	v_permlane16_swap_b32_e32 v17, v19                         // 0000000052F0: 7E22B313
	s_nop 1                                                    // 0000000052F4: BF800001
	buffer_store_dwordx4 v[16:19], v186, s[4:7], 0 offen       // 0000000052F8: E07C1000 800110BA
	v_add_u32_e32 v186, s62, v186                              // 000000005300: 6975743E
	v_accvgpr_read_b32 v8, a4                                  // 000000005304: D3D84008 18000104
	v_accvgpr_read_b32 v9, a5                                  // 00000000530C: D3D84009 18000105
	v_accvgpr_read_b32 v10, a6                                 // 000000005314: D3D8400A 18000106
	v_accvgpr_read_b32 v11, a7                                 // 00000000531C: D3D8400B 18000107
	v_accvgpr_read_b32 v12, a12                                // 000000005324: D3D8400C 1800010C
	v_accvgpr_read_b32 v13, a13                                // 00000000532C: D3D8400D 1800010D
	v_accvgpr_read_b32 v14, a14                                // 000000005334: D3D8400E 1800010E
	v_accvgpr_read_b32 v15, a15                                // 00000000533C: D3D8400F 1800010F
	v_cvt_pk_bf16_f32 v16, v8, v9                              // 000000005344: D2680010 00021308
	v_cvt_pk_bf16_f32 v17, v10, v11                            // 00000000534C: D2680011 0002170A
	v_cvt_pk_bf16_f32 v18, v12, v13                            // 000000005354: D2680012 00021B0C
	v_cvt_pk_bf16_f32 v19, v14, v15                            // 00000000535C: D2680013 00021F0E
	s_nop 1                                                    // 000000005364: BF800001
	v_permlane16_swap_b32_e32 v16, v18                         // 000000005368: 7E20B312
	s_nop 1                                                    // 00000000536C: BF800001
	v_permlane16_swap_b32_e32 v17, v19                         // 000000005370: 7E22B313
	s_nop 1                                                    // 000000005374: BF800001
	buffer_store_dwordx4 v[16:19], v186, s[4:7], 0 offen       // 000000005378: E07C1000 800110BA
	v_add_u32_e32 v186, s62, v186                              // 000000005380: 6975743E
	v_accvgpr_read_b32 v8, a80                                 // 000000005384: D3D84008 18000150
	v_accvgpr_read_b32 v9, a81                                 // 00000000538C: D3D84009 18000151
	v_accvgpr_read_b32 v10, a82                                // 000000005394: D3D8400A 18000152
	v_accvgpr_read_b32 v11, a83                                // 00000000539C: D3D8400B 18000153
	v_accvgpr_read_b32 v12, a88                                // 0000000053A4: D3D8400C 18000158
	v_accvgpr_read_b32 v13, a89                                // 0000000053AC: D3D8400D 18000159
	v_accvgpr_read_b32 v14, a90                                // 0000000053B4: D3D8400E 1800015A
	v_accvgpr_read_b32 v15, a91                                // 0000000053BC: D3D8400F 1800015B
	v_cvt_pk_bf16_f32 v16, v8, v9                              // 0000000053C4: D2680010 00021308
	v_cvt_pk_bf16_f32 v17, v10, v11                            // 0000000053CC: D2680011 0002170A
	v_cvt_pk_bf16_f32 v18, v12, v13                            // 0000000053D4: D2680012 00021B0C
	v_cvt_pk_bf16_f32 v19, v14, v15                            // 0000000053DC: D2680013 00021F0E
	s_nop 1                                                    // 0000000053E4: BF800001
	v_permlane16_swap_b32_e32 v16, v18                         // 0000000053E8: 7E20B312
	s_nop 1                                                    // 0000000053EC: BF800001
	v_permlane16_swap_b32_e32 v17, v19                         // 0000000053F0: 7E22B313
	s_nop 1                                                    // 0000000053F4: BF800001
	buffer_store_dwordx4 v[16:19], v186, s[4:7], 0 offen       // 0000000053F8: E07C1000 800110BA
	v_add_u32_e32 v186, s62, v186                              // 000000005400: 6975743E
	v_accvgpr_read_b32 v8, a84                                 // 000000005404: D3D84008 18000154
	v_accvgpr_read_b32 v9, a85                                 // 00000000540C: D3D84009 18000155
	v_accvgpr_read_b32 v10, a86                                // 000000005414: D3D8400A 18000156
	v_accvgpr_read_b32 v11, a87                                // 00000000541C: D3D8400B 18000157
	v_accvgpr_read_b32 v12, a92                                // 000000005424: D3D8400C 1800015C
	v_accvgpr_read_b32 v13, a93                                // 00000000542C: D3D8400D 1800015D
	v_accvgpr_read_b32 v14, a94                                // 000000005434: D3D8400E 1800015E
	v_accvgpr_read_b32 v15, a95                                // 00000000543C: D3D8400F 1800015F
	v_cvt_pk_bf16_f32 v16, v8, v9                              // 000000005444: D2680010 00021308
	v_cvt_pk_bf16_f32 v17, v10, v11                            // 00000000544C: D2680011 0002170A
	v_cvt_pk_bf16_f32 v18, v12, v13                            // 000000005454: D2680012 00021B0C
	v_cvt_pk_bf16_f32 v19, v14, v15                            // 00000000545C: D2680013 00021F0E
	s_nop 1                                                    // 000000005464: BF800001
	v_permlane16_swap_b32_e32 v16, v18                         // 000000005468: 7E20B312
	s_nop 1                                                    // 00000000546C: BF800001
	v_permlane16_swap_b32_e32 v17, v19                         // 000000005470: 7E22B313
	s_nop 1                                                    // 000000005474: BF800001
	buffer_store_dwordx4 v[16:19], v186, s[4:7], 0 offen       // 000000005478: E07C1000 800110BA
	v_add_u32_e32 v186, s62, v186                              // 000000005480: 6975743E
	v_add_u32_e32 v186, 64, v182                               // 000000005484: 69756CC0
	v_accvgpr_read_b32 v8, a16                                 // 000000005488: D3D84008 18000110
	v_accvgpr_read_b32 v9, a17                                 // 000000005490: D3D84009 18000111
	v_accvgpr_read_b32 v10, a18                                // 000000005498: D3D8400A 18000112
	v_accvgpr_read_b32 v11, a19                                // 0000000054A0: D3D8400B 18000113
	v_accvgpr_read_b32 v12, a24                                // 0000000054A8: D3D8400C 18000118
	v_accvgpr_read_b32 v13, a25                                // 0000000054B0: D3D8400D 18000119
	v_accvgpr_read_b32 v14, a26                                // 0000000054B8: D3D8400E 1800011A
	v_accvgpr_read_b32 v15, a27                                // 0000000054C0: D3D8400F 1800011B
	v_cvt_pk_bf16_f32 v16, v8, v9                              // 0000000054C8: D2680010 00021308
	v_cvt_pk_bf16_f32 v17, v10, v11                            // 0000000054D0: D2680011 0002170A
	v_cvt_pk_bf16_f32 v18, v12, v13                            // 0000000054D8: D2680012 00021B0C
	v_cvt_pk_bf16_f32 v19, v14, v15                            // 0000000054E0: D2680013 00021F0E
	s_nop 1                                                    // 0000000054E8: BF800001
	v_permlane16_swap_b32_e32 v16, v18                         // 0000000054EC: 7E20B312
	s_nop 1                                                    // 0000000054F0: BF800001
	v_permlane16_swap_b32_e32 v17, v19                         // 0000000054F4: 7E22B313
	s_nop 1                                                    // 0000000054F8: BF800001
	buffer_store_dwordx4 v[16:19], v186, s[4:7], 0 offen       // 0000000054FC: E07C1000 800110BA
	v_add_u32_e32 v186, s62, v186                              // 000000005504: 6975743E
	v_accvgpr_read_b32 v8, a20                                 // 000000005508: D3D84008 18000114
	v_accvgpr_read_b32 v9, a21                                 // 000000005510: D3D84009 18000115
	v_accvgpr_read_b32 v10, a22                                // 000000005518: D3D8400A 18000116
	v_accvgpr_read_b32 v11, a23                                // 000000005520: D3D8400B 18000117
	v_accvgpr_read_b32 v12, a28                                // 000000005528: D3D8400C 1800011C
	v_accvgpr_read_b32 v13, a29                                // 000000005530: D3D8400D 1800011D
	v_accvgpr_read_b32 v14, a30                                // 000000005538: D3D8400E 1800011E
	v_accvgpr_read_b32 v15, a31                                // 000000005540: D3D8400F 1800011F
	v_cvt_pk_bf16_f32 v16, v8, v9                              // 000000005548: D2680010 00021308
	v_cvt_pk_bf16_f32 v17, v10, v11                            // 000000005550: D2680011 0002170A
	v_cvt_pk_bf16_f32 v18, v12, v13                            // 000000005558: D2680012 00021B0C
	v_cvt_pk_bf16_f32 v19, v14, v15                            // 000000005560: D2680013 00021F0E
	s_nop 1                                                    // 000000005568: BF800001
	v_permlane16_swap_b32_e32 v16, v18                         // 00000000556C: 7E20B312
	s_nop 1                                                    // 000000005570: BF800001
	v_permlane16_swap_b32_e32 v17, v19                         // 000000005574: 7E22B313
	s_nop 1                                                    // 000000005578: BF800001
	buffer_store_dwordx4 v[16:19], v186, s[4:7], 0 offen       // 00000000557C: E07C1000 800110BA
	v_add_u32_e32 v186, s62, v186                              // 000000005584: 6975743E
	v_accvgpr_read_b32 v8, a96                                 // 000000005588: D3D84008 18000160
	v_accvgpr_read_b32 v9, a97                                 // 000000005590: D3D84009 18000161
	v_accvgpr_read_b32 v10, a98                                // 000000005598: D3D8400A 18000162
	v_accvgpr_read_b32 v11, a99                                // 0000000055A0: D3D8400B 18000163
	v_accvgpr_read_b32 v12, a104                               // 0000000055A8: D3D8400C 18000168
	v_accvgpr_read_b32 v13, a105                               // 0000000055B0: D3D8400D 18000169
	v_accvgpr_read_b32 v14, a106                               // 0000000055B8: D3D8400E 1800016A
	v_accvgpr_read_b32 v15, a107                               // 0000000055C0: D3D8400F 1800016B
	v_cvt_pk_bf16_f32 v16, v8, v9                              // 0000000055C8: D2680010 00021308
	v_cvt_pk_bf16_f32 v17, v10, v11                            // 0000000055D0: D2680011 0002170A
	v_cvt_pk_bf16_f32 v18, v12, v13                            // 0000000055D8: D2680012 00021B0C
	v_cvt_pk_bf16_f32 v19, v14, v15                            // 0000000055E0: D2680013 00021F0E
	s_nop 1                                                    // 0000000055E8: BF800001
	v_permlane16_swap_b32_e32 v16, v18                         // 0000000055EC: 7E20B312
	s_nop 1                                                    // 0000000055F0: BF800001
	v_permlane16_swap_b32_e32 v17, v19                         // 0000000055F4: 7E22B313
	s_nop 1                                                    // 0000000055F8: BF800001
	buffer_store_dwordx4 v[16:19], v186, s[4:7], 0 offen       // 0000000055FC: E07C1000 800110BA
	v_add_u32_e32 v186, s62, v186                              // 000000005604: 6975743E
	v_accvgpr_read_b32 v8, a100                                // 000000005608: D3D84008 18000164
	v_accvgpr_read_b32 v9, a101                                // 000000005610: D3D84009 18000165
	v_accvgpr_read_b32 v10, a102                               // 000000005618: D3D8400A 18000166
	v_accvgpr_read_b32 v11, a103                               // 000000005620: D3D8400B 18000167
	v_accvgpr_read_b32 v12, a108                               // 000000005628: D3D8400C 1800016C
	v_accvgpr_read_b32 v13, a109                               // 000000005630: D3D8400D 1800016D
	v_accvgpr_read_b32 v14, a110                               // 000000005638: D3D8400E 1800016E
	v_accvgpr_read_b32 v15, a111                               // 000000005640: D3D8400F 1800016F
	v_cvt_pk_bf16_f32 v16, v8, v9                              // 000000005648: D2680010 00021308
	v_cvt_pk_bf16_f32 v17, v10, v11                            // 000000005650: D2680011 0002170A
	v_cvt_pk_bf16_f32 v18, v12, v13                            // 000000005658: D2680012 00021B0C
	v_cvt_pk_bf16_f32 v19, v14, v15                            // 000000005660: D2680013 00021F0E
	s_nop 1                                                    // 000000005668: BF800001
	v_permlane16_swap_b32_e32 v16, v18                         // 00000000566C: 7E20B312
	s_nop 1                                                    // 000000005670: BF800001
	v_permlane16_swap_b32_e32 v17, v19                         // 000000005674: 7E22B313
	s_nop 1                                                    // 000000005678: BF800001
	buffer_store_dwordx4 v[16:19], v186, s[4:7], 0 offen       // 00000000567C: E07C1000 800110BA
	v_add_u32_e32 v186, s62, v186                              // 000000005684: 6975743E
	v_add_u32_e32 v186, 0x80, v182                             // 000000005688: 69756CFF 00000080
	v_accvgpr_read_b32 v8, a32                                 // 000000005690: D3D84008 18000120
	v_accvgpr_read_b32 v9, a33                                 // 000000005698: D3D84009 18000121
	v_accvgpr_read_b32 v10, a34                                // 0000000056A0: D3D8400A 18000122
	v_accvgpr_read_b32 v11, a35                                // 0000000056A8: D3D8400B 18000123
	v_accvgpr_read_b32 v12, a40                                // 0000000056B0: D3D8400C 18000128
	v_accvgpr_read_b32 v13, a41                                // 0000000056B8: D3D8400D 18000129
	v_accvgpr_read_b32 v14, a42                                // 0000000056C0: D3D8400E 1800012A
	v_accvgpr_read_b32 v15, a43                                // 0000000056C8: D3D8400F 1800012B
	v_cvt_pk_bf16_f32 v16, v8, v9                              // 0000000056D0: D2680010 00021308
	v_cvt_pk_bf16_f32 v17, v10, v11                            // 0000000056D8: D2680011 0002170A
	v_cvt_pk_bf16_f32 v18, v12, v13                            // 0000000056E0: D2680012 00021B0C
	v_cvt_pk_bf16_f32 v19, v14, v15                            // 0000000056E8: D2680013 00021F0E
	s_nop 1                                                    // 0000000056F0: BF800001
	v_permlane16_swap_b32_e32 v16, v18                         // 0000000056F4: 7E20B312
	s_nop 1                                                    // 0000000056F8: BF800001
	v_permlane16_swap_b32_e32 v17, v19                         // 0000000056FC: 7E22B313
	s_nop 1                                                    // 000000005700: BF800001
	buffer_store_dwordx4 v[16:19], v186, s[4:7], 0 offen       // 000000005704: E07C1000 800110BA
	v_add_u32_e32 v186, s62, v186                              // 00000000570C: 6975743E
	v_accvgpr_read_b32 v8, a36                                 // 000000005710: D3D84008 18000124
	v_accvgpr_read_b32 v9, a37                                 // 000000005718: D3D84009 18000125
	v_accvgpr_read_b32 v10, a38                                // 000000005720: D3D8400A 18000126
	v_accvgpr_read_b32 v11, a39                                // 000000005728: D3D8400B 18000127
	v_accvgpr_read_b32 v12, a44                                // 000000005730: D3D8400C 1800012C
	v_accvgpr_read_b32 v13, a45                                // 000000005738: D3D8400D 1800012D
	v_accvgpr_read_b32 v14, a46                                // 000000005740: D3D8400E 1800012E
	v_accvgpr_read_b32 v15, a47                                // 000000005748: D3D8400F 1800012F
	v_cvt_pk_bf16_f32 v16, v8, v9                              // 000000005750: D2680010 00021308
	v_cvt_pk_bf16_f32 v17, v10, v11                            // 000000005758: D2680011 0002170A
	v_cvt_pk_bf16_f32 v18, v12, v13                            // 000000005760: D2680012 00021B0C
	v_cvt_pk_bf16_f32 v19, v14, v15                            // 000000005768: D2680013 00021F0E
	s_nop 1                                                    // 000000005770: BF800001
	v_permlane16_swap_b32_e32 v16, v18                         // 000000005774: 7E20B312
	s_nop 1                                                    // 000000005778: BF800001
	v_permlane16_swap_b32_e32 v17, v19                         // 00000000577C: 7E22B313
	s_nop 1                                                    // 000000005780: BF800001
	buffer_store_dwordx4 v[16:19], v186, s[4:7], 0 offen       // 000000005784: E07C1000 800110BA
	v_add_u32_e32 v186, s62, v186                              // 00000000578C: 6975743E
	v_accvgpr_read_b32 v8, a112                                // 000000005790: D3D84008 18000170
	v_accvgpr_read_b32 v9, a113                                // 000000005798: D3D84009 18000171
	v_accvgpr_read_b32 v10, a114                               // 0000000057A0: D3D8400A 18000172
	v_accvgpr_read_b32 v11, a115                               // 0000000057A8: D3D8400B 18000173
	v_accvgpr_read_b32 v12, a120                               // 0000000057B0: D3D8400C 18000178
	v_accvgpr_read_b32 v13, a121                               // 0000000057B8: D3D8400D 18000179
	v_accvgpr_read_b32 v14, a122                               // 0000000057C0: D3D8400E 1800017A
	v_accvgpr_read_b32 v15, a123                               // 0000000057C8: D3D8400F 1800017B
	v_cvt_pk_bf16_f32 v16, v8, v9                              // 0000000057D0: D2680010 00021308
	v_cvt_pk_bf16_f32 v17, v10, v11                            // 0000000057D8: D2680011 0002170A
	v_cvt_pk_bf16_f32 v18, v12, v13                            // 0000000057E0: D2680012 00021B0C
	v_cvt_pk_bf16_f32 v19, v14, v15                            // 0000000057E8: D2680013 00021F0E
	s_nop 1                                                    // 0000000057F0: BF800001
	v_permlane16_swap_b32_e32 v16, v18                         // 0000000057F4: 7E20B312
	s_nop 1                                                    // 0000000057F8: BF800001
	v_permlane16_swap_b32_e32 v17, v19                         // 0000000057FC: 7E22B313
	s_nop 1                                                    // 000000005800: BF800001
	buffer_store_dwordx4 v[16:19], v186, s[4:7], 0 offen       // 000000005804: E07C1000 800110BA
	v_add_u32_e32 v186, s62, v186                              // 00000000580C: 6975743E
	v_accvgpr_read_b32 v8, a116                                // 000000005810: D3D84008 18000174
	v_accvgpr_read_b32 v9, a117                                // 000000005818: D3D84009 18000175
	v_accvgpr_read_b32 v10, a118                               // 000000005820: D3D8400A 18000176
	v_accvgpr_read_b32 v11, a119                               // 000000005828: D3D8400B 18000177
	v_accvgpr_read_b32 v12, a124                               // 000000005830: D3D8400C 1800017C
	v_accvgpr_read_b32 v13, a125                               // 000000005838: D3D8400D 1800017D
	v_accvgpr_read_b32 v14, a126                               // 000000005840: D3D8400E 1800017E
	v_accvgpr_read_b32 v15, a127                               // 000000005848: D3D8400F 1800017F
	v_cvt_pk_bf16_f32 v16, v8, v9                              // 000000005850: D2680010 00021308
	v_cvt_pk_bf16_f32 v17, v10, v11                            // 000000005858: D2680011 0002170A
	v_cvt_pk_bf16_f32 v18, v12, v13                            // 000000005860: D2680012 00021B0C
	v_cvt_pk_bf16_f32 v19, v14, v15                            // 000000005868: D2680013 00021F0E
	s_nop 1                                                    // 000000005870: BF800001
	v_permlane16_swap_b32_e32 v16, v18                         // 000000005874: 7E20B312
	s_nop 1                                                    // 000000005878: BF800001
	v_permlane16_swap_b32_e32 v17, v19                         // 00000000587C: 7E22B313
	s_nop 1                                                    // 000000005880: BF800001
	buffer_store_dwordx4 v[16:19], v186, s[4:7], 0 offen       // 000000005884: E07C1000 800110BA
	v_add_u32_e32 v186, s62, v186                              // 00000000588C: 6975743E
	v_add_u32_e32 v186, 0xc0, v182                             // 000000005890: 69756CFF 000000C0
	v_accvgpr_read_b32 v8, a48                                 // 000000005898: D3D84008 18000130
	v_accvgpr_read_b32 v9, a49                                 // 0000000058A0: D3D84009 18000131
	v_accvgpr_read_b32 v10, a50                                // 0000000058A8: D3D8400A 18000132
	v_accvgpr_read_b32 v11, a51                                // 0000000058B0: D3D8400B 18000133
	v_accvgpr_read_b32 v12, a56                                // 0000000058B8: D3D8400C 18000138
	v_accvgpr_read_b32 v13, a57                                // 0000000058C0: D3D8400D 18000139
	v_accvgpr_read_b32 v14, a58                                // 0000000058C8: D3D8400E 1800013A
	v_accvgpr_read_b32 v15, a59                                // 0000000058D0: D3D8400F 1800013B
	v_cvt_pk_bf16_f32 v16, v8, v9                              // 0000000058D8: D2680010 00021308
	v_cvt_pk_bf16_f32 v17, v10, v11                            // 0000000058E0: D2680011 0002170A
	v_cvt_pk_bf16_f32 v18, v12, v13                            // 0000000058E8: D2680012 00021B0C
	v_cvt_pk_bf16_f32 v19, v14, v15                            // 0000000058F0: D2680013 00021F0E
	s_nop 1                                                    // 0000000058F8: BF800001
	v_permlane16_swap_b32_e32 v16, v18                         // 0000000058FC: 7E20B312
	s_nop 1                                                    // 000000005900: BF800001
	v_permlane16_swap_b32_e32 v17, v19                         // 000000005904: 7E22B313
	s_nop 1                                                    // 000000005908: BF800001
	buffer_store_dwordx4 v[16:19], v186, s[4:7], 0 offen       // 00000000590C: E07C1000 800110BA
	v_add_u32_e32 v186, s62, v186                              // 000000005914: 6975743E
	v_accvgpr_read_b32 v8, a52                                 // 000000005918: D3D84008 18000134
	v_accvgpr_read_b32 v9, a53                                 // 000000005920: D3D84009 18000135
	v_accvgpr_read_b32 v10, a54                                // 000000005928: D3D8400A 18000136
	v_accvgpr_read_b32 v11, a55                                // 000000005930: D3D8400B 18000137
	v_accvgpr_read_b32 v12, a60                                // 000000005938: D3D8400C 1800013C
	v_accvgpr_read_b32 v13, a61                                // 000000005940: D3D8400D 1800013D
	v_accvgpr_read_b32 v14, a62                                // 000000005948: D3D8400E 1800013E
	v_accvgpr_read_b32 v15, a63                                // 000000005950: D3D8400F 1800013F
	v_cvt_pk_bf16_f32 v16, v8, v9                              // 000000005958: D2680010 00021308
	v_cvt_pk_bf16_f32 v17, v10, v11                            // 000000005960: D2680011 0002170A
	v_cvt_pk_bf16_f32 v18, v12, v13                            // 000000005968: D2680012 00021B0C
	v_cvt_pk_bf16_f32 v19, v14, v15                            // 000000005970: D2680013 00021F0E
	s_nop 1                                                    // 000000005978: BF800001
	v_permlane16_swap_b32_e32 v16, v18                         // 00000000597C: 7E20B312
	s_nop 1                                                    // 000000005980: BF800001
	v_permlane16_swap_b32_e32 v17, v19                         // 000000005984: 7E22B313
	s_nop 1                                                    // 000000005988: BF800001
	buffer_store_dwordx4 v[16:19], v186, s[4:7], 0 offen       // 00000000598C: E07C1000 800110BA
	v_add_u32_e32 v186, s62, v186                              // 000000005994: 6975743E
	v_accvgpr_read_b32 v8, a128                                // 000000005998: D3D84008 18000180
	v_accvgpr_read_b32 v9, a129                                // 0000000059A0: D3D84009 18000181
	v_accvgpr_read_b32 v10, a130                               // 0000000059A8: D3D8400A 18000182
	v_accvgpr_read_b32 v11, a131                               // 0000000059B0: D3D8400B 18000183
	v_accvgpr_read_b32 v12, a136                               // 0000000059B8: D3D8400C 18000188
	v_accvgpr_read_b32 v13, a137                               // 0000000059C0: D3D8400D 18000189
	v_accvgpr_read_b32 v14, a138                               // 0000000059C8: D3D8400E 1800018A
	v_accvgpr_read_b32 v15, a139                               // 0000000059D0: D3D8400F 1800018B
	v_cvt_pk_bf16_f32 v16, v8, v9                              // 0000000059D8: D2680010 00021308
	v_cvt_pk_bf16_f32 v17, v10, v11                            // 0000000059E0: D2680011 0002170A
	v_cvt_pk_bf16_f32 v18, v12, v13                            // 0000000059E8: D2680012 00021B0C
	v_cvt_pk_bf16_f32 v19, v14, v15                            // 0000000059F0: D2680013 00021F0E
	s_nop 1                                                    // 0000000059F8: BF800001
	v_permlane16_swap_b32_e32 v16, v18                         // 0000000059FC: 7E20B312
	s_nop 1                                                    // 000000005A00: BF800001
	v_permlane16_swap_b32_e32 v17, v19                         // 000000005A04: 7E22B313
	s_nop 1                                                    // 000000005A08: BF800001
	buffer_store_dwordx4 v[16:19], v186, s[4:7], 0 offen       // 000000005A0C: E07C1000 800110BA
	v_add_u32_e32 v186, s62, v186                              // 000000005A14: 6975743E
	v_accvgpr_read_b32 v8, a132                                // 000000005A18: D3D84008 18000184
	v_accvgpr_read_b32 v9, a133                                // 000000005A20: D3D84009 18000185
	v_accvgpr_read_b32 v10, a134                               // 000000005A28: D3D8400A 18000186
	v_accvgpr_read_b32 v11, a135                               // 000000005A30: D3D8400B 18000187
	v_accvgpr_read_b32 v12, a140                               // 000000005A38: D3D8400C 1800018C
	v_accvgpr_read_b32 v13, a141                               // 000000005A40: D3D8400D 1800018D
	v_accvgpr_read_b32 v14, a142                               // 000000005A48: D3D8400E 1800018E
	v_accvgpr_read_b32 v15, a143                               // 000000005A50: D3D8400F 1800018F
	v_cvt_pk_bf16_f32 v16, v8, v9                              // 000000005A58: D2680010 00021308
	v_cvt_pk_bf16_f32 v17, v10, v11                            // 000000005A60: D2680011 0002170A
	v_cvt_pk_bf16_f32 v18, v12, v13                            // 000000005A68: D2680012 00021B0C
	v_cvt_pk_bf16_f32 v19, v14, v15                            // 000000005A70: D2680013 00021F0E
	s_nop 1                                                    // 000000005A78: BF800001
	v_permlane16_swap_b32_e32 v16, v18                         // 000000005A7C: 7E20B312
	s_nop 1                                                    // 000000005A80: BF800001
	v_permlane16_swap_b32_e32 v17, v19                         // 000000005A84: 7E22B313
	s_nop 1                                                    // 000000005A88: BF800001
	buffer_store_dwordx4 v[16:19], v186, s[4:7], 0 offen       // 000000005A8C: E07C1000 800110BA
	v_add_u32_e32 v186, s62, v186                              // 000000005A94: 6975743E
	v_add_u32_e32 v186, 0x100, v182                            // 000000005A98: 69756CFF 00000100
	v_accvgpr_read_b32 v8, a64                                 // 000000005AA0: D3D84008 18000140
	v_accvgpr_read_b32 v9, a65                                 // 000000005AA8: D3D84009 18000141
	v_accvgpr_read_b32 v10, a66                                // 000000005AB0: D3D8400A 18000142
	v_accvgpr_read_b32 v11, a67                                // 000000005AB8: D3D8400B 18000143
	v_accvgpr_read_b32 v12, a72                                // 000000005AC0: D3D8400C 18000148
	v_accvgpr_read_b32 v13, a73                                // 000000005AC8: D3D8400D 18000149
	v_accvgpr_read_b32 v14, a74                                // 000000005AD0: D3D8400E 1800014A
	v_accvgpr_read_b32 v15, a75                                // 000000005AD8: D3D8400F 1800014B
	v_cvt_pk_bf16_f32 v16, v8, v9                              // 000000005AE0: D2680010 00021308
	v_cvt_pk_bf16_f32 v17, v10, v11                            // 000000005AE8: D2680011 0002170A
	v_cvt_pk_bf16_f32 v18, v12, v13                            // 000000005AF0: D2680012 00021B0C
	v_cvt_pk_bf16_f32 v19, v14, v15                            // 000000005AF8: D2680013 00021F0E
	s_nop 1                                                    // 000000005B00: BF800001
	v_permlane16_swap_b32_e32 v16, v18                         // 000000005B04: 7E20B312
	s_nop 1                                                    // 000000005B08: BF800001
	v_permlane16_swap_b32_e32 v17, v19                         // 000000005B0C: 7E22B313
	s_nop 1                                                    // 000000005B10: BF800001
	buffer_store_dwordx4 v[16:19], v186, s[4:7], 0 offen       // 000000005B14: E07C1000 800110BA
	v_add_u32_e32 v186, s62, v186                              // 000000005B1C: 6975743E
	v_accvgpr_read_b32 v8, a68                                 // 000000005B20: D3D84008 18000144
	v_accvgpr_read_b32 v9, a69                                 // 000000005B28: D3D84009 18000145
	v_accvgpr_read_b32 v10, a70                                // 000000005B30: D3D8400A 18000146
	v_accvgpr_read_b32 v11, a71                                // 000000005B38: D3D8400B 18000147
	v_accvgpr_read_b32 v12, a76                                // 000000005B40: D3D8400C 1800014C
	v_accvgpr_read_b32 v13, a77                                // 000000005B48: D3D8400D 1800014D
	v_accvgpr_read_b32 v14, a78                                // 000000005B50: D3D8400E 1800014E
	v_accvgpr_read_b32 v15, a79                                // 000000005B58: D3D8400F 1800014F
	v_cvt_pk_bf16_f32 v16, v8, v9                              // 000000005B60: D2680010 00021308
	v_cvt_pk_bf16_f32 v17, v10, v11                            // 000000005B68: D2680011 0002170A
	v_cvt_pk_bf16_f32 v18, v12, v13                            // 000000005B70: D2680012 00021B0C
	v_cvt_pk_bf16_f32 v19, v14, v15                            // 000000005B78: D2680013 00021F0E
	s_nop 1                                                    // 000000005B80: BF800001
	v_permlane16_swap_b32_e32 v16, v18                         // 000000005B84: 7E20B312
	s_nop 1                                                    // 000000005B88: BF800001
	v_permlane16_swap_b32_e32 v17, v19                         // 000000005B8C: 7E22B313
	s_nop 1                                                    // 000000005B90: BF800001
	buffer_store_dwordx4 v[16:19], v186, s[4:7], 0 offen       // 000000005B94: E07C1000 800110BA
	v_add_u32_e32 v186, s62, v186                              // 000000005B9C: 6975743E
	v_accvgpr_read_b32 v8, a144                                // 000000005BA0: D3D84008 18000190
	v_accvgpr_read_b32 v9, a145                                // 000000005BA8: D3D84009 18000191
	v_accvgpr_read_b32 v10, a146                               // 000000005BB0: D3D8400A 18000192
	v_accvgpr_read_b32 v11, a147                               // 000000005BB8: D3D8400B 18000193
	v_accvgpr_read_b32 v12, a152                               // 000000005BC0: D3D8400C 18000198
	v_accvgpr_read_b32 v13, a153                               // 000000005BC8: D3D8400D 18000199
	v_accvgpr_read_b32 v14, a154                               // 000000005BD0: D3D8400E 1800019A
	v_accvgpr_read_b32 v15, a155                               // 000000005BD8: D3D8400F 1800019B
	v_cvt_pk_bf16_f32 v16, v8, v9                              // 000000005BE0: D2680010 00021308
	v_cvt_pk_bf16_f32 v17, v10, v11                            // 000000005BE8: D2680011 0002170A
	v_cvt_pk_bf16_f32 v18, v12, v13                            // 000000005BF0: D2680012 00021B0C
	v_cvt_pk_bf16_f32 v19, v14, v15                            // 000000005BF8: D2680013 00021F0E
	s_nop 1                                                    // 000000005C00: BF800001
	v_permlane16_swap_b32_e32 v16, v18                         // 000000005C04: 7E20B312
	s_nop 1                                                    // 000000005C08: BF800001
	v_permlane16_swap_b32_e32 v17, v19                         // 000000005C0C: 7E22B313
	s_nop 1                                                    // 000000005C10: BF800001
	buffer_store_dwordx4 v[16:19], v186, s[4:7], 0 offen       // 000000005C14: E07C1000 800110BA
	v_add_u32_e32 v186, s62, v186                              // 000000005C1C: 6975743E
	v_accvgpr_read_b32 v8, a148                                // 000000005C20: D3D84008 18000194
	v_accvgpr_read_b32 v9, a149                                // 000000005C28: D3D84009 18000195
	v_accvgpr_read_b32 v10, a150                               // 000000005C30: D3D8400A 18000196
	v_accvgpr_read_b32 v11, a151                               // 000000005C38: D3D8400B 18000197
	v_accvgpr_read_b32 v12, a156                               // 000000005C40: D3D8400C 1800019C
	v_accvgpr_read_b32 v13, a157                               // 000000005C48: D3D8400D 1800019D
	v_accvgpr_read_b32 v14, a158                               // 000000005C50: D3D8400E 1800019E
	v_accvgpr_read_b32 v15, a159                               // 000000005C58: D3D8400F 1800019F
	v_cvt_pk_bf16_f32 v16, v8, v9                              // 000000005C60: D2680010 00021308
	v_cvt_pk_bf16_f32 v17, v10, v11                            // 000000005C68: D2680011 0002170A
	v_cvt_pk_bf16_f32 v18, v12, v13                            // 000000005C70: D2680012 00021B0C
	v_cvt_pk_bf16_f32 v19, v14, v15                            // 000000005C78: D2680013 00021F0E
	s_nop 1                                                    // 000000005C80: BF800001
	v_permlane16_swap_b32_e32 v16, v18                         // 000000005C84: 7E20B312
	s_nop 1                                                    // 000000005C88: BF800001
	v_permlane16_swap_b32_e32 v17, v19                         // 000000005C8C: 7E22B313
	s_nop 1                                                    // 000000005C90: BF800001
	buffer_store_dwordx4 v[16:19], v186, s[4:7], 0 offen       // 000000005C94: E07C1000 800110BA
	v_add_u32_e32 v186, s62, v186                              // 000000005C9C: 6975743E
	s_branch label_0EC1                                        // 000000005CA0: BF820298

0000000000005ca4 <label_0C29>:
	s_mul_i32 s62, s36, 16                                     // 000000005CA4: 923E9024
	s_cmp_lt_i32 s60, s44                                      // 000000005CA8: BF042C3C
	s_cbranch_scc0 label_0EC1                                  // 000000005CAC: BF840295
	s_addk_i32 s60, 0x20                                       // 000000005CB0: B73C0020
	v_add_u32_e32 v186, 0, v182                                // 000000005CB4: 69756C80
	v_accvgpr_read_b32 v8, a0                                  // 000000005CB8: D3D84008 18000100
	v_accvgpr_read_b32 v9, a1                                  // 000000005CC0: D3D84009 18000101
	v_accvgpr_read_b32 v10, a2                                 // 000000005CC8: D3D8400A 18000102
	v_accvgpr_read_b32 v11, a3                                 // 000000005CD0: D3D8400B 18000103
	v_accvgpr_read_b32 v12, a8                                 // 000000005CD8: D3D8400C 18000108
	v_accvgpr_read_b32 v13, a9                                 // 000000005CE0: D3D8400D 18000109
	v_accvgpr_read_b32 v14, a10                                // 000000005CE8: D3D8400E 1800010A
	v_accvgpr_read_b32 v15, a11                                // 000000005CF0: D3D8400F 1800010B
	v_cvt_pk_bf16_f32 v16, v8, v9                              // 000000005CF8: D2680010 00021308
	v_cvt_pk_bf16_f32 v17, v10, v11                            // 000000005D00: D2680011 0002170A
	v_cvt_pk_bf16_f32 v18, v12, v13                            // 000000005D08: D2680012 00021B0C
	v_cvt_pk_bf16_f32 v19, v14, v15                            // 000000005D10: D2680013 00021F0E
	s_nop 1                                                    // 000000005D18: BF800001
	v_permlane16_swap_b32_e32 v16, v18                         // 000000005D1C: 7E20B312
	s_nop 1                                                    // 000000005D20: BF800001
	v_permlane16_swap_b32_e32 v17, v19                         // 000000005D24: 7E22B313
	s_nop 1                                                    // 000000005D28: BF800001
	buffer_store_dwordx4 v[16:19], v186, s[4:7], 0 offen       // 000000005D2C: E07C1000 800110BA
	v_add_u32_e32 v186, s62, v186                              // 000000005D34: 6975743E
	v_accvgpr_read_b32 v8, a4                                  // 000000005D38: D3D84008 18000104
	v_accvgpr_read_b32 v9, a5                                  // 000000005D40: D3D84009 18000105
	v_accvgpr_read_b32 v10, a6                                 // 000000005D48: D3D8400A 18000106
	v_accvgpr_read_b32 v11, a7                                 // 000000005D50: D3D8400B 18000107
	v_accvgpr_read_b32 v12, a12                                // 000000005D58: D3D8400C 1800010C
	v_accvgpr_read_b32 v13, a13                                // 000000005D60: D3D8400D 1800010D
	v_accvgpr_read_b32 v14, a14                                // 000000005D68: D3D8400E 1800010E
	v_accvgpr_read_b32 v15, a15                                // 000000005D70: D3D8400F 1800010F
	v_cvt_pk_bf16_f32 v16, v8, v9                              // 000000005D78: D2680010 00021308
	v_cvt_pk_bf16_f32 v17, v10, v11                            // 000000005D80: D2680011 0002170A
	v_cvt_pk_bf16_f32 v18, v12, v13                            // 000000005D88: D2680012 00021B0C
	v_cvt_pk_bf16_f32 v19, v14, v15                            // 000000005D90: D2680013 00021F0E
	s_nop 1                                                    // 000000005D98: BF800001
	v_permlane16_swap_b32_e32 v16, v18                         // 000000005D9C: 7E20B312
	s_nop 1                                                    // 000000005DA0: BF800001
	v_permlane16_swap_b32_e32 v17, v19                         // 000000005DA4: 7E22B313
	s_nop 1                                                    // 000000005DA8: BF800001
	buffer_store_dwordx4 v[16:19], v186, s[4:7], 0 offen       // 000000005DAC: E07C1000 800110BA
	v_add_u32_e32 v186, s62, v186                              // 000000005DB4: 6975743E
	v_accvgpr_read_b32 v8, a80                                 // 000000005DB8: D3D84008 18000150
	v_accvgpr_read_b32 v9, a81                                 // 000000005DC0: D3D84009 18000151
	v_accvgpr_read_b32 v10, a82                                // 000000005DC8: D3D8400A 18000152
	v_accvgpr_read_b32 v11, a83                                // 000000005DD0: D3D8400B 18000153
	v_accvgpr_read_b32 v12, a88                                // 000000005DD8: D3D8400C 18000158
	v_accvgpr_read_b32 v13, a89                                // 000000005DE0: D3D8400D 18000159
	v_accvgpr_read_b32 v14, a90                                // 000000005DE8: D3D8400E 1800015A
	v_accvgpr_read_b32 v15, a91                                // 000000005DF0: D3D8400F 1800015B
	v_cvt_pk_bf16_f32 v16, v8, v9                              // 000000005DF8: D2680010 00021308
	v_cvt_pk_bf16_f32 v17, v10, v11                            // 000000005E00: D2680011 0002170A
	v_cvt_pk_bf16_f32 v18, v12, v13                            // 000000005E08: D2680012 00021B0C
	v_cvt_pk_bf16_f32 v19, v14, v15                            // 000000005E10: D2680013 00021F0E
	s_nop 1                                                    // 000000005E18: BF800001
	v_permlane16_swap_b32_e32 v16, v18                         // 000000005E1C: 7E20B312
	s_nop 1                                                    // 000000005E20: BF800001
	v_permlane16_swap_b32_e32 v17, v19                         // 000000005E24: 7E22B313
	s_nop 1                                                    // 000000005E28: BF800001
	buffer_store_dwordx4 v[16:19], v186, s[4:7], 0 offen       // 000000005E2C: E07C1000 800110BA
	v_add_u32_e32 v186, s62, v186                              // 000000005E34: 6975743E
	v_accvgpr_read_b32 v8, a84                                 // 000000005E38: D3D84008 18000154
	v_accvgpr_read_b32 v9, a85                                 // 000000005E40: D3D84009 18000155
	v_accvgpr_read_b32 v10, a86                                // 000000005E48: D3D8400A 18000156
	v_accvgpr_read_b32 v11, a87                                // 000000005E50: D3D8400B 18000157
	v_accvgpr_read_b32 v12, a92                                // 000000005E58: D3D8400C 1800015C
	v_accvgpr_read_b32 v13, a93                                // 000000005E60: D3D8400D 1800015D
	v_accvgpr_read_b32 v14, a94                                // 000000005E68: D3D8400E 1800015E
	v_accvgpr_read_b32 v15, a95                                // 000000005E70: D3D8400F 1800015F
	v_cvt_pk_bf16_f32 v16, v8, v9                              // 000000005E78: D2680010 00021308
	v_cvt_pk_bf16_f32 v17, v10, v11                            // 000000005E80: D2680011 0002170A
	v_cvt_pk_bf16_f32 v18, v12, v13                            // 000000005E88: D2680012 00021B0C
	v_cvt_pk_bf16_f32 v19, v14, v15                            // 000000005E90: D2680013 00021F0E
	s_nop 1                                                    // 000000005E98: BF800001
	v_permlane16_swap_b32_e32 v16, v18                         // 000000005E9C: 7E20B312
	s_nop 1                                                    // 000000005EA0: BF800001
	v_permlane16_swap_b32_e32 v17, v19                         // 000000005EA4: 7E22B313
	s_nop 1                                                    // 000000005EA8: BF800001
	buffer_store_dwordx4 v[16:19], v186, s[4:7], 0 offen       // 000000005EAC: E07C1000 800110BA
	v_add_u32_e32 v186, s62, v186                              // 000000005EB4: 6975743E
	s_cmp_lt_i32 s60, s44                                      // 000000005EB8: BF042C3C
	s_cbranch_scc0 label_0EC1                                  // 000000005EBC: BF840211
	s_addk_i32 s60, 0x20                                       // 000000005EC0: B73C0020
	v_add_u32_e32 v186, 64, v182                               // 000000005EC4: 69756CC0
	v_accvgpr_read_b32 v8, a16                                 // 000000005EC8: D3D84008 18000110
	v_accvgpr_read_b32 v9, a17                                 // 000000005ED0: D3D84009 18000111
	v_accvgpr_read_b32 v10, a18                                // 000000005ED8: D3D8400A 18000112
	v_accvgpr_read_b32 v11, a19                                // 000000005EE0: D3D8400B 18000113
	v_accvgpr_read_b32 v12, a24                                // 000000005EE8: D3D8400C 18000118
	v_accvgpr_read_b32 v13, a25                                // 000000005EF0: D3D8400D 18000119
	v_accvgpr_read_b32 v14, a26                                // 000000005EF8: D3D8400E 1800011A
	v_accvgpr_read_b32 v15, a27                                // 000000005F00: D3D8400F 1800011B
	v_cvt_pk_bf16_f32 v16, v8, v9                              // 000000005F08: D2680010 00021308
	v_cvt_pk_bf16_f32 v17, v10, v11                            // 000000005F10: D2680011 0002170A
	v_cvt_pk_bf16_f32 v18, v12, v13                            // 000000005F18: D2680012 00021B0C
	v_cvt_pk_bf16_f32 v19, v14, v15                            // 000000005F20: D2680013 00021F0E
	s_nop 1                                                    // 000000005F28: BF800001
	v_permlane16_swap_b32_e32 v16, v18                         // 000000005F2C: 7E20B312
	s_nop 1                                                    // 000000005F30: BF800001
	v_permlane16_swap_b32_e32 v17, v19                         // 000000005F34: 7E22B313
	s_nop 1                                                    // 000000005F38: BF800001
	buffer_store_dwordx4 v[16:19], v186, s[4:7], 0 offen       // 000000005F3C: E07C1000 800110BA
	v_add_u32_e32 v186, s62, v186                              // 000000005F44: 6975743E
	v_accvgpr_read_b32 v8, a20                                 // 000000005F48: D3D84008 18000114
	v_accvgpr_read_b32 v9, a21                                 // 000000005F50: D3D84009 18000115
	v_accvgpr_read_b32 v10, a22                                // 000000005F58: D3D8400A 18000116
	v_accvgpr_read_b32 v11, a23                                // 000000005F60: D3D8400B 18000117
	v_accvgpr_read_b32 v12, a28                                // 000000005F68: D3D8400C 1800011C
	v_accvgpr_read_b32 v13, a29                                // 000000005F70: D3D8400D 1800011D
	v_accvgpr_read_b32 v14, a30                                // 000000005F78: D3D8400E 1800011E
	v_accvgpr_read_b32 v15, a31                                // 000000005F80: D3D8400F 1800011F
	v_cvt_pk_bf16_f32 v16, v8, v9                              // 000000005F88: D2680010 00021308
	v_cvt_pk_bf16_f32 v17, v10, v11                            // 000000005F90: D2680011 0002170A
	v_cvt_pk_bf16_f32 v18, v12, v13                            // 000000005F98: D2680012 00021B0C
	v_cvt_pk_bf16_f32 v19, v14, v15                            // 000000005FA0: D2680013 00021F0E
	s_nop 1                                                    // 000000005FA8: BF800001
	v_permlane16_swap_b32_e32 v16, v18                         // 000000005FAC: 7E20B312
	s_nop 1                                                    // 000000005FB0: BF800001
	v_permlane16_swap_b32_e32 v17, v19                         // 000000005FB4: 7E22B313
	s_nop 1                                                    // 000000005FB8: BF800001
	buffer_store_dwordx4 v[16:19], v186, s[4:7], 0 offen       // 000000005FBC: E07C1000 800110BA
	v_add_u32_e32 v186, s62, v186                              // 000000005FC4: 6975743E
	v_accvgpr_read_b32 v8, a96                                 // 000000005FC8: D3D84008 18000160
	v_accvgpr_read_b32 v9, a97                                 // 000000005FD0: D3D84009 18000161
	v_accvgpr_read_b32 v10, a98                                // 000000005FD8: D3D8400A 18000162
	v_accvgpr_read_b32 v11, a99                                // 000000005FE0: D3D8400B 18000163
	v_accvgpr_read_b32 v12, a104                               // 000000005FE8: D3D8400C 18000168
	v_accvgpr_read_b32 v13, a105                               // 000000005FF0: D3D8400D 18000169
	v_accvgpr_read_b32 v14, a106                               // 000000005FF8: D3D8400E 1800016A
	v_accvgpr_read_b32 v15, a107                               // 000000006000: D3D8400F 1800016B
	v_cvt_pk_bf16_f32 v16, v8, v9                              // 000000006008: D2680010 00021308
	v_cvt_pk_bf16_f32 v17, v10, v11                            // 000000006010: D2680011 0002170A
	v_cvt_pk_bf16_f32 v18, v12, v13                            // 000000006018: D2680012 00021B0C
	v_cvt_pk_bf16_f32 v19, v14, v15                            // 000000006020: D2680013 00021F0E
	s_nop 1                                                    // 000000006028: BF800001
	v_permlane16_swap_b32_e32 v16, v18                         // 00000000602C: 7E20B312
	s_nop 1                                                    // 000000006030: BF800001
	v_permlane16_swap_b32_e32 v17, v19                         // 000000006034: 7E22B313
	s_nop 1                                                    // 000000006038: BF800001
	buffer_store_dwordx4 v[16:19], v186, s[4:7], 0 offen       // 00000000603C: E07C1000 800110BA
	v_add_u32_e32 v186, s62, v186                              // 000000006044: 6975743E
	v_accvgpr_read_b32 v8, a100                                // 000000006048: D3D84008 18000164
	v_accvgpr_read_b32 v9, a101                                // 000000006050: D3D84009 18000165
	v_accvgpr_read_b32 v10, a102                               // 000000006058: D3D8400A 18000166
	v_accvgpr_read_b32 v11, a103                               // 000000006060: D3D8400B 18000167
	v_accvgpr_read_b32 v12, a108                               // 000000006068: D3D8400C 1800016C
	v_accvgpr_read_b32 v13, a109                               // 000000006070: D3D8400D 1800016D
	v_accvgpr_read_b32 v14, a110                               // 000000006078: D3D8400E 1800016E
	v_accvgpr_read_b32 v15, a111                               // 000000006080: D3D8400F 1800016F
	v_cvt_pk_bf16_f32 v16, v8, v9                              // 000000006088: D2680010 00021308
	v_cvt_pk_bf16_f32 v17, v10, v11                            // 000000006090: D2680011 0002170A
	v_cvt_pk_bf16_f32 v18, v12, v13                            // 000000006098: D2680012 00021B0C
	v_cvt_pk_bf16_f32 v19, v14, v15                            // 0000000060A0: D2680013 00021F0E
	s_nop 1                                                    // 0000000060A8: BF800001
	v_permlane16_swap_b32_e32 v16, v18                         // 0000000060AC: 7E20B312
	s_nop 1                                                    // 0000000060B0: BF800001
	v_permlane16_swap_b32_e32 v17, v19                         // 0000000060B4: 7E22B313
	s_nop 1                                                    // 0000000060B8: BF800001
	buffer_store_dwordx4 v[16:19], v186, s[4:7], 0 offen       // 0000000060BC: E07C1000 800110BA
	v_add_u32_e32 v186, s62, v186                              // 0000000060C4: 6975743E
	s_cmp_lt_i32 s60, s44                                      // 0000000060C8: BF042C3C
	s_cbranch_scc0 label_0EC1                                  // 0000000060CC: BF84018D
	s_addk_i32 s60, 0x20                                       // 0000000060D0: B73C0020
	v_add_u32_e32 v186, 0x80, v182                             // 0000000060D4: 69756CFF 00000080
	v_accvgpr_read_b32 v8, a32                                 // 0000000060DC: D3D84008 18000120
	v_accvgpr_read_b32 v9, a33                                 // 0000000060E4: D3D84009 18000121
	v_accvgpr_read_b32 v10, a34                                // 0000000060EC: D3D8400A 18000122
	v_accvgpr_read_b32 v11, a35                                // 0000000060F4: D3D8400B 18000123
	v_accvgpr_read_b32 v12, a40                                // 0000000060FC: D3D8400C 18000128
	v_accvgpr_read_b32 v13, a41                                // 000000006104: D3D8400D 18000129
	v_accvgpr_read_b32 v14, a42                                // 00000000610C: D3D8400E 1800012A
	v_accvgpr_read_b32 v15, a43                                // 000000006114: D3D8400F 1800012B
	v_cvt_pk_bf16_f32 v16, v8, v9                              // 00000000611C: D2680010 00021308
	v_cvt_pk_bf16_f32 v17, v10, v11                            // 000000006124: D2680011 0002170A
	v_cvt_pk_bf16_f32 v18, v12, v13                            // 00000000612C: D2680012 00021B0C
	v_cvt_pk_bf16_f32 v19, v14, v15                            // 000000006134: D2680013 00021F0E
	s_nop 1                                                    // 00000000613C: BF800001
	v_permlane16_swap_b32_e32 v16, v18                         // 000000006140: 7E20B312
	s_nop 1                                                    // 000000006144: BF800001
	v_permlane16_swap_b32_e32 v17, v19                         // 000000006148: 7E22B313
	s_nop 1                                                    // 00000000614C: BF800001
	buffer_store_dwordx4 v[16:19], v186, s[4:7], 0 offen       // 000000006150: E07C1000 800110BA
	v_add_u32_e32 v186, s62, v186                              // 000000006158: 6975743E
	v_accvgpr_read_b32 v8, a36                                 // 00000000615C: D3D84008 18000124
	v_accvgpr_read_b32 v9, a37                                 // 000000006164: D3D84009 18000125
	v_accvgpr_read_b32 v10, a38                                // 00000000616C: D3D8400A 18000126
	v_accvgpr_read_b32 v11, a39                                // 000000006174: D3D8400B 18000127
	v_accvgpr_read_b32 v12, a44                                // 00000000617C: D3D8400C 1800012C
	v_accvgpr_read_b32 v13, a45                                // 000000006184: D3D8400D 1800012D
	v_accvgpr_read_b32 v14, a46                                // 00000000618C: D3D8400E 1800012E
	v_accvgpr_read_b32 v15, a47                                // 000000006194: D3D8400F 1800012F
	v_cvt_pk_bf16_f32 v16, v8, v9                              // 00000000619C: D2680010 00021308
	v_cvt_pk_bf16_f32 v17, v10, v11                            // 0000000061A4: D2680011 0002170A
	v_cvt_pk_bf16_f32 v18, v12, v13                            // 0000000061AC: D2680012 00021B0C
	v_cvt_pk_bf16_f32 v19, v14, v15                            // 0000000061B4: D2680013 00021F0E
	s_nop 1                                                    // 0000000061BC: BF800001
	v_permlane16_swap_b32_e32 v16, v18                         // 0000000061C0: 7E20B312
	s_nop 1                                                    // 0000000061C4: BF800001
	v_permlane16_swap_b32_e32 v17, v19                         // 0000000061C8: 7E22B313
	s_nop 1                                                    // 0000000061CC: BF800001
	buffer_store_dwordx4 v[16:19], v186, s[4:7], 0 offen       // 0000000061D0: E07C1000 800110BA
	v_add_u32_e32 v186, s62, v186                              // 0000000061D8: 6975743E
	v_accvgpr_read_b32 v8, a112                                // 0000000061DC: D3D84008 18000170
	v_accvgpr_read_b32 v9, a113                                // 0000000061E4: D3D84009 18000171
	v_accvgpr_read_b32 v10, a114                               // 0000000061EC: D3D8400A 18000172
	v_accvgpr_read_b32 v11, a115                               // 0000000061F4: D3D8400B 18000173
	v_accvgpr_read_b32 v12, a120                               // 0000000061FC: D3D8400C 18000178
	v_accvgpr_read_b32 v13, a121                               // 000000006204: D3D8400D 18000179
	v_accvgpr_read_b32 v14, a122                               // 00000000620C: D3D8400E 1800017A
	v_accvgpr_read_b32 v15, a123                               // 000000006214: D3D8400F 1800017B
	v_cvt_pk_bf16_f32 v16, v8, v9                              // 00000000621C: D2680010 00021308
	v_cvt_pk_bf16_f32 v17, v10, v11                            // 000000006224: D2680011 0002170A
	v_cvt_pk_bf16_f32 v18, v12, v13                            // 00000000622C: D2680012 00021B0C
	v_cvt_pk_bf16_f32 v19, v14, v15                            // 000000006234: D2680013 00021F0E
	s_nop 1                                                    // 00000000623C: BF800001
	v_permlane16_swap_b32_e32 v16, v18                         // 000000006240: 7E20B312
	s_nop 1                                                    // 000000006244: BF800001
	v_permlane16_swap_b32_e32 v17, v19                         // 000000006248: 7E22B313
	s_nop 1                                                    // 00000000624C: BF800001
	buffer_store_dwordx4 v[16:19], v186, s[4:7], 0 offen       // 000000006250: E07C1000 800110BA
	v_add_u32_e32 v186, s62, v186                              // 000000006258: 6975743E
	v_accvgpr_read_b32 v8, a116                                // 00000000625C: D3D84008 18000174
	v_accvgpr_read_b32 v9, a117                                // 000000006264: D3D84009 18000175
	v_accvgpr_read_b32 v10, a118                               // 00000000626C: D3D8400A 18000176
	v_accvgpr_read_b32 v11, a119                               // 000000006274: D3D8400B 18000177
	v_accvgpr_read_b32 v12, a124                               // 00000000627C: D3D8400C 1800017C
	v_accvgpr_read_b32 v13, a125                               // 000000006284: D3D8400D 1800017D
	v_accvgpr_read_b32 v14, a126                               // 00000000628C: D3D8400E 1800017E
	v_accvgpr_read_b32 v15, a127                               // 000000006294: D3D8400F 1800017F
	v_cvt_pk_bf16_f32 v16, v8, v9                              // 00000000629C: D2680010 00021308
	v_cvt_pk_bf16_f32 v17, v10, v11                            // 0000000062A4: D2680011 0002170A
	v_cvt_pk_bf16_f32 v18, v12, v13                            // 0000000062AC: D2680012 00021B0C
	v_cvt_pk_bf16_f32 v19, v14, v15                            // 0000000062B4: D2680013 00021F0E
	s_nop 1                                                    // 0000000062BC: BF800001
	v_permlane16_swap_b32_e32 v16, v18                         // 0000000062C0: 7E20B312
	s_nop 1                                                    // 0000000062C4: BF800001
	v_permlane16_swap_b32_e32 v17, v19                         // 0000000062C8: 7E22B313
	s_nop 1                                                    // 0000000062CC: BF800001
	buffer_store_dwordx4 v[16:19], v186, s[4:7], 0 offen       // 0000000062D0: E07C1000 800110BA
	v_add_u32_e32 v186, s62, v186                              // 0000000062D8: 6975743E
	s_cmp_lt_i32 s60, s44                                      // 0000000062DC: BF042C3C
	s_cbranch_scc0 label_0EC1                                  // 0000000062E0: BF840108
	s_addk_i32 s60, 0x20                                       // 0000000062E4: B73C0020
	v_add_u32_e32 v186, 0xc0, v182                             // 0000000062E8: 69756CFF 000000C0
	v_accvgpr_read_b32 v8, a48                                 // 0000000062F0: D3D84008 18000130
	v_accvgpr_read_b32 v9, a49                                 // 0000000062F8: D3D84009 18000131
	v_accvgpr_read_b32 v10, a50                                // 000000006300: D3D8400A 18000132
	v_accvgpr_read_b32 v11, a51                                // 000000006308: D3D8400B 18000133
	v_accvgpr_read_b32 v12, a56                                // 000000006310: D3D8400C 18000138
	v_accvgpr_read_b32 v13, a57                                // 000000006318: D3D8400D 18000139
	v_accvgpr_read_b32 v14, a58                                // 000000006320: D3D8400E 1800013A
	v_accvgpr_read_b32 v15, a59                                // 000000006328: D3D8400F 1800013B
	v_cvt_pk_bf16_f32 v16, v8, v9                              // 000000006330: D2680010 00021308
	v_cvt_pk_bf16_f32 v17, v10, v11                            // 000000006338: D2680011 0002170A
	v_cvt_pk_bf16_f32 v18, v12, v13                            // 000000006340: D2680012 00021B0C
	v_cvt_pk_bf16_f32 v19, v14, v15                            // 000000006348: D2680013 00021F0E
	s_nop 1                                                    // 000000006350: BF800001
	v_permlane16_swap_b32_e32 v16, v18                         // 000000006354: 7E20B312
	s_nop 1                                                    // 000000006358: BF800001
	v_permlane16_swap_b32_e32 v17, v19                         // 00000000635C: 7E22B313
	s_nop 1                                                    // 000000006360: BF800001
	buffer_store_dwordx4 v[16:19], v186, s[4:7], 0 offen       // 000000006364: E07C1000 800110BA
	v_add_u32_e32 v186, s62, v186                              // 00000000636C: 6975743E
	v_accvgpr_read_b32 v8, a52                                 // 000000006370: D3D84008 18000134
	v_accvgpr_read_b32 v9, a53                                 // 000000006378: D3D84009 18000135
	v_accvgpr_read_b32 v10, a54                                // 000000006380: D3D8400A 18000136
	v_accvgpr_read_b32 v11, a55                                // 000000006388: D3D8400B 18000137
	v_accvgpr_read_b32 v12, a60                                // 000000006390: D3D8400C 1800013C
	v_accvgpr_read_b32 v13, a61                                // 000000006398: D3D8400D 1800013D
	v_accvgpr_read_b32 v14, a62                                // 0000000063A0: D3D8400E 1800013E
	v_accvgpr_read_b32 v15, a63                                // 0000000063A8: D3D8400F 1800013F
	v_cvt_pk_bf16_f32 v16, v8, v9                              // 0000000063B0: D2680010 00021308
	v_cvt_pk_bf16_f32 v17, v10, v11                            // 0000000063B8: D2680011 0002170A
	v_cvt_pk_bf16_f32 v18, v12, v13                            // 0000000063C0: D2680012 00021B0C
	v_cvt_pk_bf16_f32 v19, v14, v15                            // 0000000063C8: D2680013 00021F0E
	s_nop 1                                                    // 0000000063D0: BF800001
	v_permlane16_swap_b32_e32 v16, v18                         // 0000000063D4: 7E20B312
	s_nop 1                                                    // 0000000063D8: BF800001
	v_permlane16_swap_b32_e32 v17, v19                         // 0000000063DC: 7E22B313
	s_nop 1                                                    // 0000000063E0: BF800001
	buffer_store_dwordx4 v[16:19], v186, s[4:7], 0 offen       // 0000000063E4: E07C1000 800110BA
	v_add_u32_e32 v186, s62, v186                              // 0000000063EC: 6975743E
	v_accvgpr_read_b32 v8, a128                                // 0000000063F0: D3D84008 18000180
	v_accvgpr_read_b32 v9, a129                                // 0000000063F8: D3D84009 18000181
	v_accvgpr_read_b32 v10, a130                               // 000000006400: D3D8400A 18000182
	v_accvgpr_read_b32 v11, a131                               // 000000006408: D3D8400B 18000183
	v_accvgpr_read_b32 v12, a136                               // 000000006410: D3D8400C 18000188
	v_accvgpr_read_b32 v13, a137                               // 000000006418: D3D8400D 18000189
	v_accvgpr_read_b32 v14, a138                               // 000000006420: D3D8400E 1800018A
	v_accvgpr_read_b32 v15, a139                               // 000000006428: D3D8400F 1800018B
	v_cvt_pk_bf16_f32 v16, v8, v9                              // 000000006430: D2680010 00021308
	v_cvt_pk_bf16_f32 v17, v10, v11                            // 000000006438: D2680011 0002170A
	v_cvt_pk_bf16_f32 v18, v12, v13                            // 000000006440: D2680012 00021B0C
	v_cvt_pk_bf16_f32 v19, v14, v15                            // 000000006448: D2680013 00021F0E
	s_nop 1                                                    // 000000006450: BF800001
	v_permlane16_swap_b32_e32 v16, v18                         // 000000006454: 7E20B312
	s_nop 1                                                    // 000000006458: BF800001
	v_permlane16_swap_b32_e32 v17, v19                         // 00000000645C: 7E22B313
	s_nop 1                                                    // 000000006460: BF800001
	buffer_store_dwordx4 v[16:19], v186, s[4:7], 0 offen       // 000000006464: E07C1000 800110BA
	v_add_u32_e32 v186, s62, v186                              // 00000000646C: 6975743E
	v_accvgpr_read_b32 v8, a132                                // 000000006470: D3D84008 18000184
	v_accvgpr_read_b32 v9, a133                                // 000000006478: D3D84009 18000185
	v_accvgpr_read_b32 v10, a134                               // 000000006480: D3D8400A 18000186
	v_accvgpr_read_b32 v11, a135                               // 000000006488: D3D8400B 18000187
	v_accvgpr_read_b32 v12, a140                               // 000000006490: D3D8400C 1800018C
	v_accvgpr_read_b32 v13, a141                               // 000000006498: D3D8400D 1800018D
	v_accvgpr_read_b32 v14, a142                               // 0000000064A0: D3D8400E 1800018E
	v_accvgpr_read_b32 v15, a143                               // 0000000064A8: D3D8400F 1800018F
	v_cvt_pk_bf16_f32 v16, v8, v9                              // 0000000064B0: D2680010 00021308
	v_cvt_pk_bf16_f32 v17, v10, v11                            // 0000000064B8: D2680011 0002170A
	v_cvt_pk_bf16_f32 v18, v12, v13                            // 0000000064C0: D2680012 00021B0C
	v_cvt_pk_bf16_f32 v19, v14, v15                            // 0000000064C8: D2680013 00021F0E
	s_nop 1                                                    // 0000000064D0: BF800001
	v_permlane16_swap_b32_e32 v16, v18                         // 0000000064D4: 7E20B312
	s_nop 1                                                    // 0000000064D8: BF800001
	v_permlane16_swap_b32_e32 v17, v19                         // 0000000064DC: 7E22B313
	s_nop 1                                                    // 0000000064E0: BF800001
	buffer_store_dwordx4 v[16:19], v186, s[4:7], 0 offen       // 0000000064E4: E07C1000 800110BA
	v_add_u32_e32 v186, s62, v186                              // 0000000064EC: 6975743E
	s_cmp_lt_i32 s60, s44                                      // 0000000064F0: BF042C3C
	s_cbranch_scc0 label_0EC1                                  // 0000000064F4: BF840083
	s_addk_i32 s60, 0x20                                       // 0000000064F8: B73C0020
	v_add_u32_e32 v186, 0x100, v182                            // 0000000064FC: 69756CFF 00000100
	v_accvgpr_read_b32 v8, a64                                 // 000000006504: D3D84008 18000140
	v_accvgpr_read_b32 v9, a65                                 // 00000000650C: D3D84009 18000141
	v_accvgpr_read_b32 v10, a66                                // 000000006514: D3D8400A 18000142
	v_accvgpr_read_b32 v11, a67                                // 00000000651C: D3D8400B 18000143
	v_accvgpr_read_b32 v12, a72                                // 000000006524: D3D8400C 18000148
	v_accvgpr_read_b32 v13, a73                                // 00000000652C: D3D8400D 18000149
	v_accvgpr_read_b32 v14, a74                                // 000000006534: D3D8400E 1800014A
	v_accvgpr_read_b32 v15, a75                                // 00000000653C: D3D8400F 1800014B
	v_cvt_pk_bf16_f32 v16, v8, v9                              // 000000006544: D2680010 00021308
	v_cvt_pk_bf16_f32 v17, v10, v11                            // 00000000654C: D2680011 0002170A
	v_cvt_pk_bf16_f32 v18, v12, v13                            // 000000006554: D2680012 00021B0C
	v_cvt_pk_bf16_f32 v19, v14, v15                            // 00000000655C: D2680013 00021F0E
	s_nop 1                                                    // 000000006564: BF800001
	v_permlane16_swap_b32_e32 v16, v18                         // 000000006568: 7E20B312
	s_nop 1                                                    // 00000000656C: BF800001
	v_permlane16_swap_b32_e32 v17, v19                         // 000000006570: 7E22B313
	s_nop 1                                                    // 000000006574: BF800001
	buffer_store_dwordx4 v[16:19], v186, s[4:7], 0 offen       // 000000006578: E07C1000 800110BA
	v_add_u32_e32 v186, s62, v186                              // 000000006580: 6975743E
	v_accvgpr_read_b32 v8, a68                                 // 000000006584: D3D84008 18000144
	v_accvgpr_read_b32 v9, a69                                 // 00000000658C: D3D84009 18000145
	v_accvgpr_read_b32 v10, a70                                // 000000006594: D3D8400A 18000146
	v_accvgpr_read_b32 v11, a71                                // 00000000659C: D3D8400B 18000147
	v_accvgpr_read_b32 v12, a76                                // 0000000065A4: D3D8400C 1800014C
	v_accvgpr_read_b32 v13, a77                                // 0000000065AC: D3D8400D 1800014D
	v_accvgpr_read_b32 v14, a78                                // 0000000065B4: D3D8400E 1800014E
	v_accvgpr_read_b32 v15, a79                                // 0000000065BC: D3D8400F 1800014F
	v_cvt_pk_bf16_f32 v16, v8, v9                              // 0000000065C4: D2680010 00021308
	v_cvt_pk_bf16_f32 v17, v10, v11                            // 0000000065CC: D2680011 0002170A
	v_cvt_pk_bf16_f32 v18, v12, v13                            // 0000000065D4: D2680012 00021B0C
	v_cvt_pk_bf16_f32 v19, v14, v15                            // 0000000065DC: D2680013 00021F0E
	s_nop 1                                                    // 0000000065E4: BF800001
	v_permlane16_swap_b32_e32 v16, v18                         // 0000000065E8: 7E20B312
	s_nop 1                                                    // 0000000065EC: BF800001
	v_permlane16_swap_b32_e32 v17, v19                         // 0000000065F0: 7E22B313
	s_nop 1                                                    // 0000000065F4: BF800001
	buffer_store_dwordx4 v[16:19], v186, s[4:7], 0 offen       // 0000000065F8: E07C1000 800110BA
	v_add_u32_e32 v186, s62, v186                              // 000000006600: 6975743E
	v_accvgpr_read_b32 v8, a144                                // 000000006604: D3D84008 18000190
	v_accvgpr_read_b32 v9, a145                                // 00000000660C: D3D84009 18000191
	v_accvgpr_read_b32 v10, a146                               // 000000006614: D3D8400A 18000192
	v_accvgpr_read_b32 v11, a147                               // 00000000661C: D3D8400B 18000193
	v_accvgpr_read_b32 v12, a152                               // 000000006624: D3D8400C 18000198
	v_accvgpr_read_b32 v13, a153                               // 00000000662C: D3D8400D 18000199
	v_accvgpr_read_b32 v14, a154                               // 000000006634: D3D8400E 1800019A
	v_accvgpr_read_b32 v15, a155                               // 00000000663C: D3D8400F 1800019B
	v_cvt_pk_bf16_f32 v16, v8, v9                              // 000000006644: D2680010 00021308
	v_cvt_pk_bf16_f32 v17, v10, v11                            // 00000000664C: D2680011 0002170A
	v_cvt_pk_bf16_f32 v18, v12, v13                            // 000000006654: D2680012 00021B0C
	v_cvt_pk_bf16_f32 v19, v14, v15                            // 00000000665C: D2680013 00021F0E
	s_nop 1                                                    // 000000006664: BF800001
	v_permlane16_swap_b32_e32 v16, v18                         // 000000006668: 7E20B312
	s_nop 1                                                    // 00000000666C: BF800001
	v_permlane16_swap_b32_e32 v17, v19                         // 000000006670: 7E22B313
	s_nop 1                                                    // 000000006674: BF800001
	buffer_store_dwordx4 v[16:19], v186, s[4:7], 0 offen       // 000000006678: E07C1000 800110BA
	v_add_u32_e32 v186, s62, v186                              // 000000006680: 6975743E
	v_accvgpr_read_b32 v8, a148                                // 000000006684: D3D84008 18000194
	v_accvgpr_read_b32 v9, a149                                // 00000000668C: D3D84009 18000195
	v_accvgpr_read_b32 v10, a150                               // 000000006694: D3D8400A 18000196
	v_accvgpr_read_b32 v11, a151                               // 00000000669C: D3D8400B 18000197
	v_accvgpr_read_b32 v12, a156                               // 0000000066A4: D3D8400C 1800019C
	v_accvgpr_read_b32 v13, a157                               // 0000000066AC: D3D8400D 1800019D
	v_accvgpr_read_b32 v14, a158                               // 0000000066B4: D3D8400E 1800019E
	v_accvgpr_read_b32 v15, a159                               // 0000000066BC: D3D8400F 1800019F
	v_cvt_pk_bf16_f32 v16, v8, v9                              // 0000000066C4: D2680010 00021308
	v_cvt_pk_bf16_f32 v17, v10, v11                            // 0000000066CC: D2680011 0002170A
	v_cvt_pk_bf16_f32 v18, v12, v13                            // 0000000066D4: D2680012 00021B0C
	v_cvt_pk_bf16_f32 v19, v14, v15                            // 0000000066DC: D2680013 00021F0E
	s_nop 1                                                    // 0000000066E4: BF800001
	v_permlane16_swap_b32_e32 v16, v18                         // 0000000066E8: 7E20B312
	s_nop 1                                                    // 0000000066EC: BF800001
	v_permlane16_swap_b32_e32 v17, v19                         // 0000000066F0: 7E22B313
	s_nop 1                                                    // 0000000066F4: BF800001
	buffer_store_dwordx4 v[16:19], v186, s[4:7], 0 offen       // 0000000066F8: E07C1000 800110BA
	v_add_u32_e32 v186, s62, v186                              // 000000006700: 6975743E

0000000000006704 <label_0EC1>:
	s_waitcnt vmcnt(0) expcnt(0) lgkmcnt(0)                    // 000000006704: BF8C0000
	s_endpgm                                                   // 000000006708: BF810000
